;; amdgpu-corpus repo=ROCm/rocFFT kind=compiled arch=gfx1201 opt=O3
	.text
	.amdgcn_target "amdgcn-amd-amdhsa--gfx1201"
	.amdhsa_code_object_version 6
	.protected	fft_rtc_back_len289_factors_17_17_wgs_119_tpt_17_sp_op_CI_CI_sbrc_erc_z_xy_aligned_dirReg ; -- Begin function fft_rtc_back_len289_factors_17_17_wgs_119_tpt_17_sp_op_CI_CI_sbrc_erc_z_xy_aligned_dirReg
	.globl	fft_rtc_back_len289_factors_17_17_wgs_119_tpt_17_sp_op_CI_CI_sbrc_erc_z_xy_aligned_dirReg
	.p2align	8
	.type	fft_rtc_back_len289_factors_17_17_wgs_119_tpt_17_sp_op_CI_CI_sbrc_erc_z_xy_aligned_dirReg,@function
fft_rtc_back_len289_factors_17_17_wgs_119_tpt_17_sp_op_CI_CI_sbrc_erc_z_xy_aligned_dirReg: ; @fft_rtc_back_len289_factors_17_17_wgs_119_tpt_17_sp_op_CI_CI_sbrc_erc_z_xy_aligned_dirReg
; %bb.0:
	s_load_b256 s[4:11], s[0:1], 0x0
	v_add_nc_u16 v6, v0, 0xee
	v_add_nc_u16 v9, v0, 0x253
	v_mov_b32_e32 v21, 0
	v_add_nc_u16 v7, v0, 0x165
	v_add_nc_u16 v8, v0, 0x1dc
	v_and_b32_e32 v2, 0xffff, v6
	v_and_b32_e32 v5, 0xffff, v9
	v_add_nc_u16 v1, v0, 0x77
	v_and_b32_e32 v3, 0xffff, v7
	v_and_b32_e32 v4, 0xffff, v8
	v_mul_u32_u24_e32 v2, 0xe3, v2
	v_mul_u32_u24_e32 v11, 0xe3, v5
	v_and_b32_e32 v1, 0xffff, v1
	v_mul_u32_u24_e32 v3, 0xe3, v3
	v_mul_u32_u24_e32 v10, 0xe3, v4
	v_lshrrev_b32_e32 v5, 16, v2
	v_lshrrev_b32_e32 v2, 16, v11
	v_add_nc_u16 v32, v0, 0x42f
	v_lshrrev_b32_e32 v4, 16, v3
	s_wait_kmcnt 0x0
	s_load_b128 s[16:19], s[8:9], 0x8
	s_clause 0x1
	s_load_b128 s[12:15], s[0:1], 0x58
	s_load_b64 s[20:21], s[0:1], 0x20
	v_mul_lo_u16 v14, 0x121, v2
	v_lshrrev_b32_e32 v3, 16, v10
	v_mul_lo_u16 v10, 0x121, v5
	v_mul_lo_u16 v11, 0x121, v4
	s_wait_kmcnt 0x0
	s_mov_b32 s17, 0
	v_sub_nc_u16 v29, v9, v14
	v_mul_lo_u16 v13, 0x121, v3
	v_sub_nc_u16 v6, v6, v10
	v_sub_nc_u16 v10, v7, v11
	s_mov_b32 s9, s17
	v_add_nc_u16 v30, v0, 0x2ca
	v_sub_nc_u16 v11, v8, v13
	v_and_b32_e32 v7, 0xffff, v6
	v_add_nc_u16 v39, v0, 0x594
	v_add_nc_u16 v42, v0, 0x60b
	v_and_b32_e32 v31, 0xffff, v30
	v_add_nc_u16 v46, v0, 0x770
	s_add_co_i32 s0, s16, -1
	s_delay_alu instid0(SALU_CYCLE_1) | instskip(NEXT) | instid1(SALU_CYCLE_1)
	s_mul_hi_u32 s1, s0, 0x24924925
	s_sub_co_i32 s0, s0, s1
	s_delay_alu instid0(SALU_CYCLE_1) | instskip(NEXT) | instid1(SALU_CYCLE_1)
	s_lshr_b32 s0, s0, 1
	s_add_co_i32 s0, s0, s1
	s_delay_alu instid0(SALU_CYCLE_1) | instskip(NEXT) | instid1(SALU_CYCLE_1)
	s_lshr_b32 s16, s0, 2
	s_add_co_i32 s19, s16, 1
	s_delay_alu instid0(SALU_CYCLE_1) | instskip(SKIP_3) | instid1(SALU_CYCLE_1)
	s_mul_i32 s18, s19, s18
	s_cvt_f32_u32 s22, s19
	s_cvt_f32_u32 s0, s18
	s_sub_co_i32 s23, 0, s18
	v_rcp_iflag_f32_e32 v9, s22
	s_delay_alu instid0(SALU_CYCLE_1) | instskip(SKIP_3) | instid1(TRANS32_DEP_1)
	v_rcp_iflag_f32_e32 v12, s0
	s_load_b128 s[0:3], s[10:11], 0x0
	s_wait_kmcnt 0x0
	s_load_b32 s3, s[10:11], 0x10
	v_readfirstlane_b32 s8, v12
	s_delay_alu instid0(VALU_DEP_1) | instskip(NEXT) | instid1(SALU_CYCLE_3)
	s_mul_f32 s8, s8, 0x4f7ffffe
	s_cvt_u32_f32 s8, s8
	v_mad_co_u64_u32 v[12:13], null, s0, v1, 0
	s_delay_alu instid0(SALU_CYCLE_2)
	s_mul_i32 s23, s23, s8
	v_and_b32_e32 v8, 0xffff, v10
	s_wait_alu 0xfffe
	s_mul_hi_u32 s22, s8, s23
	v_readfirstlane_b32 s23, v9
	s_wait_alu 0xfffe
	s_add_co_i32 s8, s8, s22
	v_mad_co_u64_u32 v[14:15], null, s0, v7, 0
	s_mul_hi_u32 s8, ttmp9, s8
	s_mul_f32 s23, s23, 0x4f7ffffe
	s_mul_i32 s22, s8, s18
	s_add_co_i32 s24, s8, 1
	s_wait_alu 0xfffe
	s_sub_co_i32 s22, ttmp9, s22
	v_and_b32_e32 v6, 0xffff, v11
	s_wait_alu 0xfffe
	s_sub_co_i32 s25, s22, s18
	s_cmp_ge_u32 s22, s18
	v_mad_co_u64_u32 v[10:11], null, s0, v0, 0
	s_cselect_b32 s8, s24, s8
	s_cselect_b32 s22, s25, s22
	s_add_co_i32 s24, s8, 1
	s_wait_alu 0xfffe
	s_cmp_ge_u32 s22, s18
	s_cvt_u32_f32 s22, s23
	s_cselect_b32 s8, s24, s8
	s_not_b32 s16, s16
	s_mul_i32 s18, s8, s18
	s_wait_alu 0xfffe
	s_mul_i32 s16, s16, s22
	s_sub_co_i32 s18, ttmp9, s18
	s_mul_hi_u32 s16, s22, s16
	v_mov_b32_e32 v9, v11
	s_add_co_i32 s22, s22, s16
	v_mov_b32_e32 v11, v13
	v_mov_b32_e32 v13, v15
	s_wait_alu 0xfffe
	s_mul_hi_u32 s16, s18, s22
	s_mul_hi_u32 s22, ttmp9, s22
	s_mul_i32 s23, s16, s19
	v_mad_co_u64_u32 v[16:17], null, s0, v8, 0
	s_wait_alu 0xfffe
	s_sub_co_i32 s18, s18, s23
	s_add_co_i32 s23, s16, 1
	s_sub_co_i32 s24, s18, s19
	s_cmp_ge_u32 s18, s19
	v_mad_co_u64_u32 v[24:25], null, s1, v0, v[9:10]
	s_wait_alu 0xfffe
	s_cselect_b32 s16, s23, s16
	s_cselect_b32 s18, s24, s18
	s_add_co_i32 s23, s16, 1
	s_cmp_ge_u32 s18, s19
	s_mul_i32 s18, s22, s19
	s_wait_alu 0xfffe
	s_cselect_b32 s22, s23, s16
	s_sub_co_i32 s16, ttmp9, s18
	v_mad_co_u64_u32 v[25:26], null, s1, v1, v[11:12]
	s_sub_co_i32 s18, s16, s19
	s_cmp_ge_u32 s16, s19
	v_mad_co_u64_u32 v[18:19], null, s0, v6, 0
	s_cselect_b32 s16, s18, s16
	v_mov_b32_e32 v15, v17
	s_sub_co_i32 s18, s16, s19
	s_cmp_ge_u32 s16, s19
	v_mad_co_u64_u32 v[26:27], null, s1, v7, v[13:14]
	s_cselect_b32 s16, s18, s16
	s_lshl_b64 s[18:19], s[6:7], 3
	v_mov_b32_e32 v11, v24
	s_add_nc_u64 s[6:7], s[10:11], s[18:19]
	v_mad_co_u64_u32 v[27:28], null, s1, v8, v[15:16]
	s_load_b64 s[10:11], s[6:7], 0x0
	s_mul_i32 s6, s16, 7
	v_mov_b32_e32 v13, v25
	s_wait_kmcnt 0x0
	s_mul_i32 s3, s22, s3
	s_mul_i32 s7, s6, s2
	v_mul_lo_u32 v20, s2, v5
	v_mov_b32_e32 v17, v19
	v_lshlrev_b64_e32 v[10:11], 3, v[10:11]
	s_add_co_i32 s16, s7, s3
	v_mov_b32_e32 v15, v26
	s_lshl_b64 s[24:25], s[16:17], 3
	v_lshlrev_b64_e32 v[12:13], 3, v[12:13]
	v_and_b32_e32 v9, 0xffff, v29
	v_mad_co_u64_u32 v[28:29], null, s1, v6, v[17:18]
	v_mov_b32_e32 v17, v27
	v_lshlrev_b64_e32 v[14:15], 3, v[14:15]
	v_lshlrev_b64_e32 v[22:23], 3, v[20:21]
	v_mul_lo_u32 v20, s2, v4
	v_add_nc_u16 v26, v0, 0x341
	s_mul_u64 s[10:11], s[10:11], s[8:9]
	v_lshlrev_b64_e32 v[16:17], 3, v[16:17]
	s_lshl_b64 s[10:11], s[10:11], 3
	v_mul_u32_u24_e32 v5, 0x910, v5
	s_add_nc_u64 s[10:11], s[12:13], s[10:11]
	v_and_b32_e32 v27, 0xffff, v26
	s_add_nc_u64 s[10:11], s[10:11], s[24:25]
	v_lshlrev_b64_e32 v[19:20], 3, v[20:21]
	v_add_co_u32 v10, vcc_lo, s10, v10
	v_add_co_ci_u32_e32 v11, vcc_lo, s11, v11, vcc_lo
	v_add_co_u32 v12, vcc_lo, s10, v12
	s_wait_alu 0xfffd
	v_add_co_ci_u32_e32 v13, vcc_lo, s11, v13, vcc_lo
	v_add_co_u32 v14, vcc_lo, s10, v14
	s_wait_alu 0xfffd
	;; [unrolled: 3-line block ×4, first 2 shown]
	v_add_co_ci_u32_e32 v15, vcc_lo, v15, v23, vcc_lo
	v_add_co_u32 v16, vcc_lo, v16, v19
	v_mul_u32_u24_e32 v19, 0xe3, v31
	v_mad_co_u64_u32 v[22:23], null, s0, v9, 0
	s_wait_alu 0xfffd
	v_add_co_ci_u32_e32 v17, vcc_lo, v17, v20, vcc_lo
	s_delay_alu instid0(VALU_DEP_3)
	v_lshrrev_b32_e32 v51, 16, v19
	v_mov_b32_e32 v19, v28
	v_mul_lo_u32 v20, s2, v3
	v_add_nc_u16 v31, v0, 0x3b8
	v_mad_co_u64_u32 v[23:24], null, s1, v9, v[23:24]
	v_mul_lo_u16 v25, 0x121, v51
	v_lshlrev_b64_e32 v[18:19], 3, v[18:19]
	s_clause 0x3
	global_load_b64 v[10:11], v[10:11], off
	global_load_b64 v[12:13], v[12:13], off
	;; [unrolled: 1-line block ×4, first 2 shown]
	v_mul_u32_u24_e32 v4, 0x910, v4
	v_lshlrev_b32_e32 v8, 3, v8
	v_sub_nc_u16 v24, v30, v25
	v_mul_u32_u24_e32 v25, 0xe3, v27
	v_add_co_u32 v27, vcc_lo, s10, v18
	s_wait_alu 0xfffd
	v_add_co_ci_u32_e32 v28, vcc_lo, s11, v19, vcc_lo
	s_delay_alu instid0(VALU_DEP_3)
	v_lshrrev_b32_e32 v53, 16, v25
	v_lshlrev_b64_e32 v[18:19], 3, v[20:21]
	v_mul_lo_u32 v20, s2, v2
	v_and_b32_e32 v52, 0xffff, v24
	v_lshlrev_b64_e32 v[22:23], 3, v[22:23]
	v_mul_lo_u16 v29, 0x121, v53
	v_mul_u32_u24_e32 v3, 0x910, v3
	v_add_co_u32 v18, vcc_lo, v27, v18
	s_wait_alu 0xfffd
	v_add_co_ci_u32_e32 v19, vcc_lo, v28, v19, vcc_lo
	v_sub_nc_u16 v28, v26, v29
	v_mad_co_u64_u32 v[24:25], null, s0, v52, 0
	v_lshlrev_b64_e32 v[26:27], 3, v[20:21]
	v_and_b32_e32 v20, 0xffff, v31
	s_delay_alu instid0(VALU_DEP_4)
	v_and_b32_e32 v54, 0xffff, v28
	v_add_co_u32 v22, vcc_lo, s10, v22
	s_wait_alu 0xfffd
	v_add_co_ci_u32_e32 v23, vcc_lo, s11, v23, vcc_lo
	v_mad_co_u64_u32 v[28:29], null, s1, v52, v[25:26]
	v_mul_u32_u24_e32 v20, 0x717, v20
	v_mad_co_u64_u32 v[29:30], null, s0, v54, 0
	v_add_co_u32 v22, vcc_lo, v22, v26
	s_delay_alu instid0(VALU_DEP_3)
	v_lshrrev_b32_e32 v55, 19, v20
	v_mov_b32_e32 v25, v28
	s_wait_alu 0xfffd
	v_add_co_ci_u32_e32 v23, vcc_lo, v23, v27, vcc_lo
	v_mov_b32_e32 v20, v30
	v_mul_lo_u16 v28, 0x121, v55
	v_lshlrev_b64_e32 v[24:25], 3, v[24:25]
	v_lshlrev_b32_e32 v6, 3, v6
	v_lshl_add_u32 v1, v1, 3, 0
	v_mad_co_u64_u32 v[26:27], null, s1, v54, v[20:21]
	v_mul_lo_u32 v20, s2, v51
	v_sub_nc_u16 v27, v31, v28
	v_and_b32_e32 v28, 0xffff, v32
	v_add_co_u32 v31, vcc_lo, s10, v24
	s_wait_alu 0xfffd
	v_add_co_ci_u32_e32 v33, vcc_lo, s11, v25, vcc_lo
	s_delay_alu instid0(VALU_DEP_3)
	v_mul_u32_u24_e32 v34, 0x717, v28
	v_mov_b32_e32 v30, v26
	v_lshlrev_b64_e32 v[24:25], 3, v[20:21]
	v_and_b32_e32 v56, 0xffff, v27
	v_mul_lo_u32 v20, s2, v53
	v_lshrrev_b32_e32 v57, 19, v34
	v_lshlrev_b64_e32 v[26:27], 3, v[29:30]
	v_add_nc_u16 v34, v0, 0x51d
	v_mad_co_u64_u32 v[28:29], null, s0, v56, 0
	v_add_co_u32 v24, vcc_lo, v31, v24
	s_wait_alu 0xfffd
	v_add_co_ci_u32_e32 v25, vcc_lo, v33, v25, vcc_lo
	v_mul_lo_u16 v33, 0x121, v57
	v_lshlrev_b64_e32 v[30:31], 3, v[20:21]
	v_add_co_u32 v26, vcc_lo, s10, v26
	v_mov_b32_e32 v20, v29
	s_delay_alu instid0(VALU_DEP_4)
	v_sub_nc_u16 v29, v32, v33
	v_add_nc_u16 v33, v0, 0x4a6
	s_wait_alu 0xfffd
	v_add_co_ci_u32_e32 v27, vcc_lo, s11, v27, vcc_lo
	v_add_co_u32 v26, vcc_lo, v26, v30
	v_and_b32_e32 v58, 0xffff, v29
	v_mad_co_u64_u32 v[29:30], null, s1, v56, v[20:21]
	v_and_b32_e32 v20, 0xffff, v33
	s_wait_alu 0xfffd
	v_add_co_ci_u32_e32 v27, vcc_lo, v27, v31, vcc_lo
	v_mad_co_u64_u32 v[30:31], null, s0, v58, 0
	s_delay_alu instid0(VALU_DEP_3)
	v_mul_u32_u24_e32 v32, 0x717, v20
	v_mul_lo_u32 v20, s2, v55
	v_lshlrev_b64_e32 v[28:29], 3, v[28:29]
	v_and_b32_e32 v35, 0xffff, v34
	s_clause 0x3
	global_load_b64 v[18:19], v[18:19], off
	global_load_b64 v[22:23], v[22:23], off
	;; [unrolled: 1-line block ×4, first 2 shown]
	v_lshrrev_b32_e32 v59, 19, v32
	v_mad_co_u64_u32 v[31:32], null, s1, v58, v[31:32]
	v_add_co_u32 v36, vcc_lo, s10, v28
	s_delay_alu instid0(VALU_DEP_3)
	v_mul_lo_u16 v32, 0x121, v59
	s_wait_alu 0xfffd
	v_add_co_ci_u32_e32 v37, vcc_lo, s11, v29, vcc_lo
	v_lshlrev_b64_e32 v[28:29], 3, v[20:21]
	v_mul_u32_u24_e32 v35, 0x717, v35
	v_sub_nc_u16 v20, v33, v32
	v_lshlrev_b64_e32 v[30:31], 3, v[30:31]
	v_add3_u32 v4, 0, v4, v8
	v_mul_u32_u24_e32 v2, 0x910, v2
	v_lshrrev_b32_e32 v60, 19, v35
	v_and_b32_e32 v61, 0xffff, v20
	v_add_co_u32 v28, vcc_lo, v36, v28
	s_wait_alu 0xfffd
	v_add_co_ci_u32_e32 v29, vcc_lo, v37, v29, vcc_lo
	s_delay_alu instid0(VALU_DEP_3) | instskip(SKIP_4) | instid1(VALU_DEP_4)
	v_mad_co_u64_u32 v[32:33], null, s0, v61, 0
	v_mul_lo_u16 v35, 0x121, v60
	v_mul_lo_u32 v20, s2, v57
	v_add_co_u32 v37, vcc_lo, s10, v30
	v_and_b32_e32 v36, 0xffff, v39
	v_sub_nc_u16 v35, v34, v35
	v_mov_b32_e32 v30, v33
	s_wait_alu 0xfffd
	v_add_co_ci_u32_e32 v38, vcc_lo, s11, v31, vcc_lo
	v_mul_u32_u24_e32 v36, 0x717, v36
	v_lshlrev_b64_e32 v[33:34], 3, v[20:21]
	v_mad_co_u64_u32 v[30:31], null, s1, v61, v[30:31]
	v_and_b32_e32 v62, 0xffff, v35
	s_delay_alu instid0(VALU_DEP_4)
	v_lshrrev_b32_e32 v63, 19, v36
	v_mul_lo_u32 v20, s2, v59
	v_add_co_u32 v37, vcc_lo, v37, v33
	s_wait_alu 0xfffd
	v_add_co_ci_u32_e32 v38, vcc_lo, v38, v34, vcc_lo
	v_mov_b32_e32 v33, v30
	v_mad_co_u64_u32 v[35:36], null, s0, v62, 0
	v_mul_lo_u16 v31, 0x121, v63
	v_mul_u32_u24_e32 v8, 0x910, v55
	s_mov_b32 s7, s17
	s_delay_alu instid0(VALU_DEP_3) | instskip(NEXT) | instid1(VALU_DEP_3)
	v_mov_b32_e32 v30, v36
	v_sub_nc_u16 v36, v39, v31
	v_lshlrev_b64_e32 v[31:32], 3, v[32:33]
	v_lshlrev_b32_e32 v7, 3, v7
	s_delay_alu instid0(VALU_DEP_3) | instskip(NEXT) | instid1(VALU_DEP_3)
	v_and_b32_e32 v64, 0xffff, v36
	v_mad_co_u64_u32 v[33:34], null, s1, v62, v[30:31]
	v_and_b32_e32 v34, 0xffff, v42
	v_add_co_u32 v41, vcc_lo, s10, v31
	v_lshlrev_b64_e32 v[30:31], 3, v[20:21]
	v_mad_co_u64_u32 v[39:40], null, s0, v64, 0
	s_delay_alu instid0(VALU_DEP_4)
	v_mul_u32_u24_e32 v34, 0x717, v34
	v_mov_b32_e32 v36, v33
	s_wait_alu 0xfffd
	v_add_co_ci_u32_e32 v32, vcc_lo, s11, v32, vcc_lo
	v_mul_lo_u32 v20, s2, v60
	v_add_co_u32 v30, vcc_lo, v41, v30
	v_lshrrev_b32_e32 v65, 19, v34
	v_lshlrev_b64_e32 v[33:34], 3, v[35:36]
	s_wait_alu 0xfffd
	v_add_co_ci_u32_e32 v31, vcc_lo, v32, v31, vcc_lo
	v_mov_b32_e32 v32, v40
	v_lshlrev_b64_e32 v[35:36], 3, v[20:21]
	v_mul_lo_u16 v43, 0x121, v65
	v_add3_u32 v5, 0, v5, v7
	v_lshlrev_b32_e32 v7, 3, v54
	v_mad_co_u64_u32 v[40:41], null, s1, v64, v[32:33]
	v_add_co_u32 v32, vcc_lo, s10, v33
	s_wait_alu 0xfffd
	v_add_co_ci_u32_e32 v33, vcc_lo, s11, v34, vcc_lo
	v_sub_nc_u16 v20, v42, v43
	s_delay_alu instid0(VALU_DEP_3) | instskip(SKIP_1) | instid1(VALU_DEP_3)
	v_add_co_u32 v32, vcc_lo, v32, v35
	s_wait_alu 0xfffd
	v_add_co_ci_u32_e32 v33, vcc_lo, v33, v36, vcc_lo
	s_clause 0x3
	global_load_b64 v[28:29], v[28:29], off
	global_load_b64 v[36:37], v[37:38], off
	;; [unrolled: 1-line block ×4, first 2 shown]
	v_add_nc_u16 v42, v0, 0x682
	v_and_b32_e32 v66, 0xffff, v20
	v_add_nc_u16 v43, v0, 0x6f9
	v_lshlrev_b64_e32 v[38:39], 3, v[39:40]
	s_delay_alu instid0(VALU_DEP_4) | instskip(NEXT) | instid1(VALU_DEP_4)
	v_and_b32_e32 v20, 0xffff, v42
	v_mad_co_u64_u32 v[34:35], null, s0, v66, 0
	s_delay_alu instid0(VALU_DEP_4) | instskip(NEXT) | instid1(VALU_DEP_3)
	v_and_b32_e32 v41, 0xffff, v43
	v_mul_u32_u24_e32 v20, 0x717, v20
	s_delay_alu instid0(VALU_DEP_2) | instskip(NEXT) | instid1(VALU_DEP_2)
	v_mul_u32_u24_e32 v45, 0x717, v41
	v_lshrrev_b32_e32 v67, 19, v20
	v_mul_lo_u32 v20, s2, v63
	s_delay_alu instid0(VALU_DEP_3) | instskip(NEXT) | instid1(VALU_DEP_3)
	v_lshrrev_b32_e32 v68, 19, v45
	v_mul_lo_u16 v44, 0x121, v67
	s_wait_loadcnt 0x2
	v_mad_co_u64_u32 v[40:41], null, s1, v66, v[35:36]
	v_and_b32_e32 v41, 0xffff, v46
	s_delay_alu instid0(VALU_DEP_3)
	v_sub_nc_u16 v35, v42, v44
	v_add_co_u32 v42, vcc_lo, s10, v38
	s_wait_alu 0xfffd
	v_add_co_ci_u32_e32 v44, vcc_lo, s11, v39, vcc_lo
	v_lshlrev_b64_e32 v[38:39], 3, v[20:21]
	v_mul_lo_u16 v20, 0x121, v68
	v_mul_u32_u24_e32 v45, 0x717, v41
	v_and_b32_e32 v69, 0xffff, v35
	v_mov_b32_e32 v35, v40
	s_delay_alu instid0(VALU_DEP_4) | instskip(NEXT) | instid1(VALU_DEP_4)
	v_sub_nc_u16 v43, v43, v20
	v_lshrrev_b32_e32 v70, 19, v45
	v_add_co_u32 v38, vcc_lo, v42, v38
	s_wait_alu 0xfffd
	v_add_co_ci_u32_e32 v39, vcc_lo, v44, v39, vcc_lo
	v_and_b32_e32 v71, 0xffff, v43
	v_mul_lo_u16 v44, 0x121, v70
	v_mad_co_u64_u32 v[40:41], null, s0, v69, 0
	v_mul_lo_u32 v20, s2, v65
	s_delay_alu instid0(VALU_DEP_4) | instskip(NEXT) | instid1(VALU_DEP_4)
	v_mad_co_u64_u32 v[42:43], null, s0, v71, 0
	v_sub_nc_u16 v44, v46, v44
	v_lshlrev_b64_e32 v[34:35], 3, v[34:35]
	s_delay_alu instid0(VALU_DEP_2) | instskip(NEXT) | instid1(VALU_DEP_4)
	v_and_b32_e32 v72, 0xffff, v44
	v_mad_co_u64_u32 v[44:45], null, s1, v69, v[41:42]
	s_delay_alu instid0(VALU_DEP_3) | instskip(NEXT) | instid1(VALU_DEP_3)
	v_add_co_u32 v47, vcc_lo, s10, v34
	v_mad_co_u64_u32 v[45:46], null, s0, v72, 0
	s_wait_alu 0xfffd
	v_add_co_ci_u32_e32 v48, vcc_lo, s11, v35, vcc_lo
	s_delay_alu instid0(VALU_DEP_4)
	v_mov_b32_e32 v41, v44
	v_lshlrev_b64_e32 v[34:35], 3, v[20:21]
	v_mad_co_u64_u32 v[43:44], null, s1, v71, v[43:44]
	v_mul_lo_u32 v20, s2, v67
	v_mov_b32_e32 v44, v46
	v_lshlrev_b64_e32 v[40:41], 3, v[40:41]
	v_add_co_u32 v34, vcc_lo, v47, v34
	s_wait_alu 0xfffd
	v_add_co_ci_u32_e32 v35, vcc_lo, v48, v35, vcc_lo
	v_mad_co_u64_u32 v[49:50], null, s1, v72, v[44:45]
	v_lshlrev_b64_e32 v[47:48], 3, v[20:21]
	v_mul_lo_u32 v20, s2, v68
	v_add_co_u32 v44, vcc_lo, s10, v40
	s_clause 0x1
	global_load_b64 v[38:39], v[38:39], off
	global_load_b64 v[34:35], v[34:35], off
	s_wait_alu 0xfffd
	v_add_co_ci_u32_e32 v50, vcc_lo, s11, v41, vcc_lo
	v_mov_b32_e32 v46, v49
	v_lshlrev_b64_e32 v[40:41], 3, v[42:43]
	v_add_co_u32 v42, vcc_lo, v44, v47
	s_wait_alu 0xfffd
	v_add_co_ci_u32_e32 v43, vcc_lo, v50, v48, vcc_lo
	v_lshlrev_b64_e32 v[47:48], 3, v[20:21]
	v_mul_lo_u32 v20, s2, v70
	v_lshlrev_b64_e32 v[44:45], 3, v[45:46]
	v_add_co_u32 v46, vcc_lo, s10, v40
	s_wait_alu 0xfffd
	v_add_co_ci_u32_e32 v49, vcc_lo, s11, v41, vcc_lo
	s_delay_alu instid0(VALU_DEP_3)
	v_add_co_u32 v50, vcc_lo, s10, v44
	v_lshlrev_b64_e32 v[40:41], 3, v[20:21]
	s_wait_alu 0xfffd
	v_add_co_ci_u32_e32 v73, vcc_lo, s11, v45, vcc_lo
	v_add_co_u32 v44, vcc_lo, v46, v47
	s_wait_alu 0xfffd
	v_add_co_ci_u32_e32 v45, vcc_lo, v49, v48, vcc_lo
	v_add_co_u32 v40, vcc_lo, v50, v40
	s_wait_alu 0xfffd
	v_add_co_ci_u32_e32 v41, vcc_lo, v73, v41, vcc_lo
	s_clause 0x2
	global_load_b64 v[42:43], v[42:43], off
	global_load_b64 v[44:45], v[44:45], off
	;; [unrolled: 1-line block ×3, first 2 shown]
	v_mul_u32_u24_e32 v20, 0xf10, v0
	s_add_nc_u64 s[10:11], s[20:21], s[18:19]
	s_clause 0x2
	s_load_b128 s[0:3], s[20:21], 0x0
	s_load_b32 s12, s[20:21], 0x10
	s_load_b64 s[10:11], s[10:11], 0x0
	s_wait_kmcnt 0x0
	s_mov_b32 s3, s17
	v_lshrrev_b32_e32 v20, 16, v20
	s_delay_alu instid0(VALU_DEP_1) | instskip(NEXT) | instid1(VALU_DEP_1)
	v_add_nc_u32_e32 v46, s6, v20
	v_mul_hi_u32 v47, 0x24924925, v46
	s_mul_i32 s2, s22, s2
	s_wait_alu 0xfffe
	s_lshl_b64 s[2:3], s[2:3], 3
	s_delay_alu instid0(VALU_DEP_1) | instskip(NEXT) | instid1(VALU_DEP_1)
	v_sub_nc_u32_e32 v48, v46, v47
	v_lshrrev_b32_e32 v48, 1, v48
	s_delay_alu instid0(VALU_DEP_1) | instskip(NEXT) | instid1(VALU_DEP_1)
	v_add_nc_u32_e32 v47, v48, v47
	v_lshrrev_b32_e32 v47, 2, v47
	s_delay_alu instid0(VALU_DEP_1) | instskip(NEXT) | instid1(VALU_DEP_1)
	v_mul_lo_u32 v47, v47, 7
	v_sub_nc_u32_e32 v46, v46, v47
	v_lshl_add_u32 v47, v0, 3, 0
	ds_store_b64 v47, v[10:11]
	ds_store_b64 v1, v[12:13]
	;; [unrolled: 1-line block ×4, first 2 shown]
	v_add3_u32 v1, 0, v3, v6
	v_lshlrev_b32_e32 v3, 3, v9
	v_mul_u32_u24_e32 v4, 0x910, v51
	v_lshlrev_b32_e32 v5, 3, v52
	v_mul_u32_u24_e32 v6, 0x910, v53
	v_lshlrev_b32_e32 v9, 3, v56
	ds_store_b64 v1, v[18:19]
	v_add3_u32 v1, 0, v2, v3
	v_add3_u32 v2, 0, v4, v5
	;; [unrolled: 1-line block ×3, first 2 shown]
	v_mul_u32_u24_e32 v5, 0x910, v57
	v_lshlrev_b32_e32 v6, 3, v58
	v_add3_u32 v4, 0, v8, v9
	ds_store_b64 v1, v[22:23]
	ds_store_b64 v2, v[24:25]
	;; [unrolled: 1-line block ×4, first 2 shown]
	v_mul_u32_u24_e32 v2, 0x910, v59
	v_lshlrev_b32_e32 v3, 3, v61
	v_add3_u32 v1, 0, v5, v6
	v_mul_u32_u24_e32 v4, 0x910, v60
	v_lshlrev_b32_e32 v5, 3, v62
	v_mul_u32_u24_e32 v6, 0x910, v63
	v_lshlrev_b32_e32 v7, 3, v64
	v_add3_u32 v2, 0, v2, v3
	ds_store_b64 v1, v[36:37]
	v_add3_u32 v3, 0, v4, v5
	v_mul_u32_u24_e32 v46, 0x122, v46
	v_add3_u32 v4, 0, v6, v7
	v_mul_u32_u24_e32 v8, 0x910, v65
	v_lshlrev_b32_e32 v9, 3, v66
	v_lshlrev_b32_e32 v5, 3, v71
	v_mul_u32_u24_e32 v6, 0x910, v70
	v_lshlrev_b32_e32 v7, 3, v72
	s_wait_loadcnt 0x6
	ds_store_b64 v2, v[30:31]
	s_wait_loadcnt 0x5
	ds_store_b64 v3, v[32:33]
	;; [unrolled: 2-line block ×3, first 2 shown]
	v_mul_lo_u16 v2, v20, 17
	v_add3_u32 v1, 0, v8, v9
	v_mul_u32_u24_e32 v4, 0x910, v68
	v_lshlrev_b32_e32 v8, 3, v46
	v_lshlrev_b32_e32 v3, 3, v69
	v_sub_nc_u16 v2, v0, v2
	s_wait_loadcnt 0x3
	ds_store_b64 v1, v[34:35]
	v_mul_u32_u24_e32 v1, 0x910, v67
	v_add_nc_u32_e32 v27, 0, v8
	v_and_b32_e32 v26, 0xffff, v2
	v_add3_u32 v2, 0, v4, v5
	s_delay_alu instid0(VALU_DEP_4)
	v_add3_u32 v1, 0, v1, v3
	v_add3_u32 v3, 0, v6, v7
	s_wait_loadcnt 0x2
	ds_store_b64 v1, v[42:43]
	s_wait_loadcnt 0x1
	ds_store_b64 v2, v[44:45]
	;; [unrolled: 2-line block ×3, first 2 shown]
	v_lshlrev_b32_e32 v4, 3, v26
	global_wb scope:SCOPE_SE
	s_wait_dscnt 0x0
	s_barrier_signal -1
	s_barrier_wait -1
	global_inv scope:SCOPE_SE
	v_add_nc_u32_e32 v25, v27, v4
	v_add3_u32 v24, 0, v4, v8
	ds_load_b64 v[40:41], v25
	ds_load_2addr_b64 v[28:31], v24 offset0:17 offset1:34
	ds_load_2addr_b64 v[17:20], v24 offset0:51 offset1:68
	;; [unrolled: 1-line block ×3, first 2 shown]
	v_add_nc_u32_e32 v36, 0x400, v24
	ds_load_2addr_b64 v[32:35], v24 offset0:221 offset1:238
	ds_load_2addr_b64 v[36:39], v36 offset0:127 offset1:144
	s_wait_dscnt 0x4
	v_dual_add_f32 v1, v40, v28 :: v_dual_add_f32 v2, v41, v29
	s_delay_alu instid0(VALU_DEP_1)
	v_dual_add_f32 v5, v1, v30 :: v_dual_add_f32 v6, v2, v31
	ds_load_2addr_b64 v[1:4], v24 offset0:119 offset1:136
	s_wait_dscnt 0x1
	v_dual_sub_f32 v42, v29, v39 :: v_dual_add_f32 v43, v38, v28
	v_dual_add_f32 v5, v5, v17 :: v_dual_add_f32 v6, v6, v18
	v_sub_f32_e32 v28, v28, v38
	s_delay_alu instid0(VALU_DEP_3) | instskip(NEXT) | instid1(VALU_DEP_3)
	v_mul_f32_e32 v44, 0xbeb8f4ab, v42
	v_dual_mul_f32 v66, 0xbf06c442, v42 :: v_dual_add_f32 v13, v5, v19
	s_delay_alu instid0(VALU_DEP_4)
	v_add_f32_e32 v14, v6, v20
	ds_load_2addr_b64 v[5:8], v24 offset0:153 offset1:170
	v_fmamk_f32 v46, v43, 0x3f6eb680, v44
	v_mul_f32_e32 v49, 0xbf65296c, v42
	v_dual_add_f32 v13, v13, v9 :: v_dual_add_f32 v14, v14, v10
	v_mul_f32_e32 v61, 0xbf4c4adb, v42
	s_delay_alu instid0(VALU_DEP_4) | instskip(SKIP_1) | instid1(VALU_DEP_4)
	v_add_f32_e32 v46, v40, v46
	v_fma_f32 v44, 0x3f6eb680, v43, -v44
	v_dual_add_f32 v22, v13, v11 :: v_dual_add_f32 v23, v14, v12
	ds_load_2addr_b64 v[13:16], v24 offset0:187 offset1:204
	v_dual_add_f32 v29, v39, v29 :: v_dual_add_f32 v44, v40, v44
	s_wait_dscnt 0x2
	v_dual_add_f32 v22, v22, v1 :: v_dual_add_f32 v23, v23, v2
	v_fmamk_f32 v68, v43, 0xbf59a7d5, v66
	s_delay_alu instid0(VALU_DEP_3) | instskip(NEXT) | instid1(VALU_DEP_3)
	v_mul_f32_e32 v48, 0x3f3d2fb0, v29
	v_dual_mul_f32 v57, 0xbf763a35, v42 :: v_dual_add_f32 v22, v22, v3
	s_delay_alu instid0(VALU_DEP_4) | instskip(NEXT) | instid1(VALU_DEP_4)
	v_add_f32_e32 v23, v23, v4
	v_add_f32_e32 v68, v40, v68
	s_delay_alu instid0(VALU_DEP_4)
	v_fmamk_f32 v50, v28, 0x3f2c7751, v48
	v_mul_f32_e32 v45, 0x3f6eb680, v29
	s_wait_dscnt 0x1
	v_add_f32_e32 v22, v22, v5
	v_fmac_f32_e32 v48, 0xbf2c7751, v28
	v_dual_mul_f32 v67, 0xbf59a7d5, v29 :: v_dual_add_f32 v50, v41, v50
	v_fmamk_f32 v52, v43, 0x3ee437d1, v49
	s_delay_alu instid0(VALU_DEP_4) | instskip(NEXT) | instid1(VALU_DEP_4)
	v_add_f32_e32 v22, v22, v7
	v_dual_add_f32 v48, v41, v48 :: v_dual_fmamk_f32 v59, v43, 0xbe8c1d8e, v57
	v_mul_f32_e32 v60, 0xbe8c1d8e, v29
	v_mul_f32_e32 v54, 0xbf7ee86f, v42
	s_wait_dscnt 0x0
	v_add_f32_e32 v22, v22, v13
	v_mul_f32_e32 v55, 0x3dbcf732, v29
	v_add_f32_e32 v59, v40, v59
	v_fma_f32 v57, 0xbe8c1d8e, v43, -v57
	v_add_f32_e32 v52, v40, v52
	v_add_f32_e32 v22, v22, v15
	v_fmamk_f32 v58, v28, 0x3f7ee86f, v55
	v_mul_f32_e32 v51, 0x3ee437d1, v29
	v_fmamk_f32 v56, v43, 0x3dbcf732, v54
	v_fma_f32 v54, 0x3dbcf732, v43, -v54
	v_add_f32_e32 v22, v22, v32
	v_add_f32_e32 v58, v41, v58
	v_fma_f32 v66, 0xbf59a7d5, v43, -v66
	v_add_f32_e32 v56, v40, v56
	v_fma_f32 v49, 0x3ee437d1, v43, -v49
	v_add_f32_e32 v22, v22, v34
	v_add_f32_e32 v23, v23, v6
	v_dual_sub_f32 v71, v31, v37 :: v_dual_add_f32 v54, v40, v54
	v_add_f32_e32 v66, v40, v66
	s_delay_alu instid0(VALU_DEP_4) | instskip(NEXT) | instid1(VALU_DEP_4)
	v_add_f32_e32 v22, v22, v36
	v_add_f32_e32 v23, v23, v8
	v_mad_u32_u24 v27, 0x88, v26, v27
	global_wb scope:SCOPE_SE
	s_barrier_signal -1
	v_add_f32_e32 v22, v22, v38
	v_add_f32_e32 v23, v23, v14
	v_mul_f32_e32 v38, 0xbf2c7751, v42
	v_dual_mul_f32 v42, 0xbe3c28d5, v42 :: v_dual_add_f32 v57, v40, v57
	s_barrier_wait -1
	s_delay_alu instid0(VALU_DEP_3) | instskip(NEXT) | instid1(VALU_DEP_3)
	v_add_f32_e32 v23, v23, v16
	v_fmamk_f32 v47, v43, 0x3f3d2fb0, v38
	v_fma_f32 v38, 0x3f3d2fb0, v43, -v38
	v_fmamk_f32 v70, v43, 0xbf7ba420, v42
	v_mul_f32_e32 v63, 0xbf1a4643, v29
	v_add_f32_e32 v23, v23, v33
	s_delay_alu instid0(VALU_DEP_4) | instskip(NEXT) | instid1(VALU_DEP_4)
	v_dual_mul_f32 v29, 0xbf7ba420, v29 :: v_dual_add_f32 v38, v40, v38
	v_add_f32_e32 v70, v40, v70
	v_add_f32_e32 v47, v40, v47
	s_delay_alu instid0(VALU_DEP_3) | instskip(SKIP_2) | instid1(VALU_DEP_3)
	v_dual_add_f32 v23, v23, v35 :: v_dual_fmamk_f32 v72, v28, 0x3e3c28d5, v29
	v_fmamk_f32 v65, v28, 0x3f4c4adb, v63
	v_fmamk_f32 v62, v28, 0x3f763a35, v60
	v_dual_fmac_f32 v60, 0xbf763a35, v28 :: v_dual_add_f32 v23, v23, v37
	v_fma_f32 v42, 0xbf7ba420, v43, -v42
	s_delay_alu instid0(VALU_DEP_4) | instskip(NEXT) | instid1(VALU_DEP_4)
	v_add_f32_e32 v65, v41, v65
	v_dual_fmamk_f32 v53, v28, 0x3f65296c, v51 :: v_dual_add_f32 v62, v41, v62
	s_delay_alu instid0(VALU_DEP_4) | instskip(SKIP_2) | instid1(VALU_DEP_4)
	v_add_f32_e32 v23, v23, v39
	v_fmamk_f32 v39, v28, 0x3eb8f4ab, v45
	v_fmac_f32_e32 v45, 0xbeb8f4ab, v28
	v_add_f32_e32 v53, v41, v53
	v_fmac_f32_e32 v51, 0xbf65296c, v28
	v_add_f32_e32 v60, v41, v60
	v_add_f32_e32 v39, v41, v39
	;; [unrolled: 1-line block ×3, first 2 shown]
	v_fmamk_f32 v69, v28, 0x3f06c442, v67
	v_fmac_f32_e32 v55, 0xbf7ee86f, v28
	v_fmac_f32_e32 v63, 0xbf4c4adb, v28
	;; [unrolled: 1-line block ×4, first 2 shown]
	v_dual_add_f32 v69, v41, v69 :: v_dual_sub_f32 v28, v30, v36
	v_add_f32_e32 v31, v37, v31
	v_dual_add_f32 v49, v40, v49 :: v_dual_fmamk_f32 v64, v43, 0xbf1a4643, v61
	v_fma_f32 v61, 0xbf1a4643, v43, -v61
	s_delay_alu instid0(VALU_DEP_3) | instskip(SKIP_1) | instid1(VALU_DEP_4)
	v_dual_add_f32 v37, v36, v30 :: v_dual_mul_f32 v30, 0x3f3d2fb0, v31
	v_mul_f32_e32 v43, 0xbf2c7751, v71
	v_dual_add_f32 v51, v41, v51 :: v_dual_add_f32 v64, v40, v64
	s_delay_alu instid0(VALU_DEP_4)
	v_dual_add_f32 v61, v40, v61 :: v_dual_add_f32 v36, v41, v72
	v_add_f32_e32 v40, v40, v42
	v_mul_f32_e32 v42, 0xbf7ee86f, v71
	v_fmamk_f32 v72, v37, 0x3f3d2fb0, v43
	v_add_f32_e32 v55, v41, v55
	v_add_f32_e32 v63, v41, v63
	;; [unrolled: 1-line block ×4, first 2 shown]
	v_fmamk_f32 v41, v28, 0x3f2c7751, v30
	v_add_f32_e32 v46, v72, v46
	v_fmac_f32_e32 v30, 0xbf2c7751, v28
	v_mul_f32_e32 v72, 0x3dbcf732, v31
	global_inv scope:SCOPE_SE
	v_dual_add_f32 v30, v30, v45 :: v_dual_fmamk_f32 v45, v28, 0x3f7ee86f, v72
	v_fmac_f32_e32 v72, 0xbf7ee86f, v28
	v_mul_f32_e32 v73, 0xbf1a4643, v31
	v_add_f32_e32 v39, v41, v39
	v_fmamk_f32 v41, v37, 0x3dbcf732, v42
	v_fma_f32 v42, 0x3dbcf732, v37, -v42
	v_dual_add_f32 v45, v45, v50 :: v_dual_mul_f32 v50, 0xbe3c28d5, v71
	s_delay_alu instid0(VALU_DEP_2) | instskip(SKIP_2) | instid1(VALU_DEP_1)
	v_dual_add_f32 v41, v41, v47 :: v_dual_add_f32 v38, v42, v38
	v_add_f32_e32 v42, v72, v48
	v_fmamk_f32 v48, v28, 0x3f4c4adb, v73
	v_dual_fmac_f32 v73, 0xbf4c4adb, v28 :: v_dual_add_f32 v48, v48, v53
	v_fma_f32 v43, 0x3f3d2fb0, v37, -v43
	v_fmamk_f32 v53, v37, 0xbf7ba420, v50
	v_mul_f32_e32 v72, 0x3f06c442, v71
	v_fma_f32 v50, 0xbf7ba420, v37, -v50
	s_delay_alu instid0(VALU_DEP_4) | instskip(NEXT) | instid1(VALU_DEP_4)
	v_add_f32_e32 v43, v43, v44
	v_dual_add_f32 v53, v53, v56 :: v_dual_mul_f32 v44, 0xbf4c4adb, v71
	s_delay_alu instid0(VALU_DEP_4) | instskip(NEXT) | instid1(VALU_DEP_4)
	v_fmamk_f32 v56, v37, 0xbf59a7d5, v72
	v_add_f32_e32 v50, v50, v54
	v_mul_f32_e32 v54, 0x3f763a35, v71
	s_delay_alu instid0(VALU_DEP_4) | instskip(SKIP_1) | instid1(VALU_DEP_2)
	v_fmamk_f32 v47, v37, 0xbf1a4643, v44
	v_fma_f32 v44, 0xbf1a4643, v37, -v44
	v_dual_add_f32 v47, v47, v52 :: v_dual_mul_f32 v52, 0xbf7ba420, v31
	s_delay_alu instid0(VALU_DEP_2) | instskip(SKIP_1) | instid1(VALU_DEP_3)
	v_dual_add_f32 v44, v44, v49 :: v_dual_add_f32 v49, v73, v51
	v_mul_f32_e32 v73, 0xbe8c1d8e, v31
	v_fmamk_f32 v51, v28, 0x3e3c28d5, v52
	s_delay_alu instid0(VALU_DEP_1) | instskip(NEXT) | instid1(VALU_DEP_1)
	v_dual_fmac_f32 v52, 0xbe3c28d5, v28 :: v_dual_add_f32 v51, v51, v58
	v_add_f32_e32 v52, v52, v55
	v_add_f32_e32 v55, v56, v59
	v_fma_f32 v59, 0xbf59a7d5, v37, -v72
	v_mul_f32_e32 v58, 0xbf59a7d5, v31
	s_delay_alu instid0(VALU_DEP_2) | instskip(NEXT) | instid1(VALU_DEP_2)
	v_dual_fmamk_f32 v72, v37, 0xbe8c1d8e, v54 :: v_dual_add_f32 v57, v59, v57
	v_fmamk_f32 v56, v28, 0xbf06c442, v58
	v_fmac_f32_e32 v58, 0x3f06c442, v28
	s_delay_alu instid0(VALU_DEP_3) | instskip(SKIP_1) | instid1(VALU_DEP_4)
	v_add_f32_e32 v59, v72, v64
	v_fma_f32 v54, 0xbe8c1d8e, v37, -v54
	v_add_f32_e32 v56, v56, v62
	s_delay_alu instid0(VALU_DEP_4)
	v_add_f32_e32 v58, v58, v60
	v_fmamk_f32 v60, v28, 0xbf763a35, v73
	v_mul_f32_e32 v62, 0x3f65296c, v71
	v_fmac_f32_e32 v73, 0x3f763a35, v28
	v_mul_f32_e32 v64, 0x3ee437d1, v31
	v_dual_mul_f32 v71, 0x3eb8f4ab, v71 :: v_dual_add_f32 v54, v54, v61
	v_mul_f32_e32 v31, 0x3f6eb680, v31
	s_delay_alu instid0(VALU_DEP_4) | instskip(SKIP_1) | instid1(VALU_DEP_1)
	v_dual_add_f32 v63, v73, v63 :: v_dual_add_f32 v60, v60, v65
	v_fmamk_f32 v65, v37, 0x3ee437d1, v62
	v_add_f32_e32 v65, v65, v68
	v_fma_f32 v62, 0x3ee437d1, v37, -v62
	s_delay_alu instid0(VALU_DEP_1)
	v_add_f32_e32 v62, v62, v66
	v_sub_f32_e32 v66, v18, v35
	v_dual_add_f32 v18, v35, v18 :: v_dual_fmamk_f32 v61, v28, 0xbf65296c, v64
	v_fmamk_f32 v68, v37, 0x3f6eb680, v71
	v_fmac_f32_e32 v64, 0x3f65296c, v28
	v_fma_f32 v35, 0x3f6eb680, v37, -v71
	s_delay_alu instid0(VALU_DEP_2) | instskip(NEXT) | instid1(VALU_DEP_4)
	v_add_f32_e32 v64, v64, v67
	v_add_f32_e32 v67, v68, v70
	v_dual_mul_f32 v70, 0xbf65296c, v66 :: v_dual_add_f32 v61, v61, v69
	v_dual_fmamk_f32 v68, v28, 0xbeb8f4ab, v31 :: v_dual_add_f32 v69, v34, v17
	v_fmac_f32_e32 v31, 0x3eb8f4ab, v28
	v_sub_f32_e32 v17, v17, v34
	v_add_f32_e32 v35, v35, v40
	s_delay_alu instid0(VALU_DEP_4) | instskip(SKIP_3) | instid1(VALU_DEP_3)
	v_add_f32_e32 v36, v68, v36
	v_fmamk_f32 v28, v69, 0x3ee437d1, v70
	v_fma_f32 v40, 0x3ee437d1, v69, -v70
	v_mul_f32_e32 v68, 0xbe8c1d8e, v18
	v_add_f32_e32 v28, v28, v46
	v_dual_mul_f32 v34, 0x3ee437d1, v18 :: v_dual_add_f32 v29, v31, v29
	v_mul_f32_e32 v46, 0xbf1a4643, v18
	v_dual_mul_f32 v37, 0xbf4c4adb, v66 :: v_dual_add_f32 v40, v40, v43
	s_delay_alu instid0(VALU_DEP_3) | instskip(NEXT) | instid1(VALU_DEP_1)
	v_fmamk_f32 v31, v17, 0x3f65296c, v34
	v_dual_fmac_f32 v34, 0xbf65296c, v17 :: v_dual_add_f32 v31, v31, v39
	s_delay_alu instid0(VALU_DEP_1)
	v_add_f32_e32 v30, v34, v30
	v_fmamk_f32 v34, v17, 0x3f4c4adb, v46
	v_mul_f32_e32 v43, 0x3e3c28d5, v66
	v_fmac_f32_e32 v46, 0xbf4c4adb, v17
	v_fmamk_f32 v39, v69, 0xbf1a4643, v37
	v_fma_f32 v37, 0xbf1a4643, v69, -v37
	s_delay_alu instid0(VALU_DEP_2) | instskip(SKIP_2) | instid1(VALU_DEP_4)
	v_add_f32_e32 v39, v39, v41
	v_fmamk_f32 v41, v69, 0xbf7ba420, v43
	v_fma_f32 v43, 0xbf7ba420, v69, -v43
	v_add_f32_e32 v37, v37, v38
	v_add_f32_e32 v38, v46, v42
	s_delay_alu instid0(VALU_DEP_4) | instskip(NEXT) | instid1(VALU_DEP_4)
	v_dual_mul_f32 v42, 0x3f763a35, v66 :: v_dual_add_f32 v41, v41, v47
	v_dual_add_f32 v43, v43, v44 :: v_dual_add_f32 v34, v34, v45
	v_mul_f32_e32 v45, 0xbf7ba420, v18
	s_delay_alu instid0(VALU_DEP_3) | instskip(SKIP_1) | instid1(VALU_DEP_3)
	v_fmamk_f32 v47, v69, 0xbe8c1d8e, v42
	v_fma_f32 v42, 0xbe8c1d8e, v69, -v42
	v_fmamk_f32 v46, v17, 0xbe3c28d5, v45
	s_delay_alu instid0(VALU_DEP_2) | instskip(NEXT) | instid1(VALU_DEP_2)
	v_add_f32_e32 v42, v42, v50
	v_dual_add_f32 v46, v46, v48 :: v_dual_fmac_f32 v45, 0x3e3c28d5, v17
	v_mul_f32_e32 v48, 0x3f2c7751, v66
	s_delay_alu instid0(VALU_DEP_2) | instskip(SKIP_3) | instid1(VALU_DEP_2)
	v_dual_add_f32 v44, v45, v49 :: v_dual_mul_f32 v49, 0x3f3d2fb0, v18
	v_add_f32_e32 v45, v47, v53
	v_fmamk_f32 v47, v17, 0xbf763a35, v68
	v_mul_f32_e32 v53, 0xbeb8f4ab, v66
	v_dual_add_f32 v47, v47, v51 :: v_dual_fmac_f32 v68, 0x3f763a35, v17
	s_delay_alu instid0(VALU_DEP_1) | instskip(NEXT) | instid1(VALU_DEP_1)
	v_dual_fmamk_f32 v51, v69, 0x3f3d2fb0, v48 :: v_dual_add_f32 v50, v68, v52
	v_add_f32_e32 v51, v51, v55
	v_fma_f32 v48, 0x3f3d2fb0, v69, -v48
	v_fmamk_f32 v55, v69, 0x3f6eb680, v53
	v_fmamk_f32 v52, v17, 0xbf2c7751, v49
	v_fmac_f32_e32 v49, 0x3f2c7751, v17
	v_mul_f32_e32 v68, 0x3dbcf732, v18
	v_dual_add_f32 v48, v48, v57 :: v_dual_mul_f32 v57, 0xbf7ee86f, v66
	s_delay_alu instid0(VALU_DEP_4) | instskip(SKIP_2) | instid1(VALU_DEP_4)
	v_dual_add_f32 v55, v55, v59 :: v_dual_add_f32 v52, v52, v56
	v_mul_f32_e32 v56, 0x3f6eb680, v18
	v_add_f32_e32 v49, v49, v58
	v_fmamk_f32 v59, v69, 0x3dbcf732, v57
	s_delay_alu instid0(VALU_DEP_3) | instskip(SKIP_2) | instid1(VALU_DEP_1)
	v_fmamk_f32 v58, v17, 0x3eb8f4ab, v56
	v_fmac_f32_e32 v56, 0xbeb8f4ab, v17
	v_fma_f32 v53, 0x3f6eb680, v69, -v53
	v_dual_add_f32 v53, v53, v54 :: v_dual_add_f32 v54, v56, v63
	v_dual_add_f32 v56, v59, v65 :: v_dual_fmamk_f32 v59, v17, 0x3f7ee86f, v68
	v_fma_f32 v57, 0x3dbcf732, v69, -v57
	s_delay_alu instid0(VALU_DEP_1) | instskip(NEXT) | instid1(VALU_DEP_1)
	v_dual_fmac_f32 v68, 0xbf7ee86f, v17 :: v_dual_add_f32 v57, v57, v62
	v_dual_add_f32 v62, v68, v64 :: v_dual_add_f32 v59, v59, v61
	v_add_f32_e32 v58, v58, v60
	v_mul_f32_e32 v60, 0xbf06c442, v66
	v_mul_f32_e32 v18, 0xbf59a7d5, v18
	v_sub_f32_e32 v64, v20, v33
	v_add_f32_e32 v20, v33, v20
	s_delay_alu instid0(VALU_DEP_4) | instskip(NEXT) | instid1(VALU_DEP_4)
	v_fmamk_f32 v61, v69, 0xbf59a7d5, v60
	v_fmamk_f32 v63, v17, 0x3f06c442, v18
	v_dual_fmac_f32 v18, 0xbf06c442, v17 :: v_dual_sub_f32 v17, v19, v32
	v_mul_f32_e32 v33, 0xbf7ee86f, v64
	s_delay_alu instid0(VALU_DEP_3) | instskip(NEXT) | instid1(VALU_DEP_3)
	v_dual_add_f32 v61, v61, v67 :: v_dual_add_f32 v36, v63, v36
	v_dual_add_f32 v18, v18, v29 :: v_dual_add_f32 v63, v32, v19
	v_fma_f32 v60, 0xbf59a7d5, v69, -v60
	v_mul_f32_e32 v19, 0x3dbcf732, v20
	v_mul_f32_e32 v29, 0xbe3c28d5, v64
	s_delay_alu instid0(VALU_DEP_3) | instskip(NEXT) | instid1(VALU_DEP_3)
	v_dual_fmamk_f32 v32, v63, 0x3dbcf732, v33 :: v_dual_add_f32 v35, v60, v35
	v_fmamk_f32 v60, v17, 0x3f7ee86f, v19
	s_delay_alu instid0(VALU_DEP_2) | instskip(SKIP_2) | instid1(VALU_DEP_4)
	v_dual_fmac_f32 v19, 0xbf7ee86f, v17 :: v_dual_add_f32 v28, v32, v28
	v_fma_f32 v32, 0x3dbcf732, v63, -v33
	v_fmamk_f32 v33, v63, 0xbf7ba420, v29
	v_dual_add_f32 v31, v60, v31 :: v_dual_mul_f32 v60, 0xbf7ba420, v20
	s_delay_alu instid0(VALU_DEP_3) | instskip(NEXT) | instid1(VALU_DEP_3)
	v_dual_add_f32 v19, v19, v30 :: v_dual_add_f32 v32, v32, v40
	v_add_f32_e32 v30, v33, v39
	v_fma_f32 v29, 0xbf7ba420, v63, -v29
	s_delay_alu instid0(VALU_DEP_4) | instskip(SKIP_1) | instid1(VALU_DEP_3)
	v_fmamk_f32 v39, v17, 0x3e3c28d5, v60
	v_fmac_f32_e32 v60, 0xbe3c28d5, v17
	v_dual_mul_f32 v40, 0xbe8c1d8e, v20 :: v_dual_add_f32 v29, v29, v37
	s_delay_alu instid0(VALU_DEP_1) | instskip(NEXT) | instid1(VALU_DEP_1)
	v_dual_add_f32 v37, v60, v38 :: v_dual_fmamk_f32 v38, v17, 0xbf763a35, v40
	v_dual_add_f32 v38, v38, v46 :: v_dual_mul_f32 v33, 0x3f763a35, v64
	v_add_f32_e32 v34, v39, v34
	v_mul_f32_e32 v46, 0x3f6eb680, v20
	s_delay_alu instid0(VALU_DEP_3) | instskip(SKIP_2) | instid1(VALU_DEP_3)
	v_fmamk_f32 v65, v63, 0xbe8c1d8e, v33
	v_fma_f32 v33, 0xbe8c1d8e, v63, -v33
	v_fmac_f32_e32 v40, 0x3f763a35, v17
	v_add_f32_e32 v39, v65, v41
	v_mul_f32_e32 v41, 0x3eb8f4ab, v64
	s_delay_alu instid0(VALU_DEP_3) | instskip(SKIP_2) | instid1(VALU_DEP_4)
	v_dual_add_f32 v33, v33, v43 :: v_dual_add_f32 v40, v40, v44
	v_fmamk_f32 v44, v17, 0xbeb8f4ab, v46
	v_fmac_f32_e32 v46, 0x3eb8f4ab, v17
	v_fmamk_f32 v60, v63, 0x3f6eb680, v41
	v_fma_f32 v41, 0x3f6eb680, v63, -v41
	s_delay_alu instid0(VALU_DEP_2) | instskip(SKIP_2) | instid1(VALU_DEP_4)
	v_add_f32_e32 v45, v60, v45
	v_dual_mul_f32 v43, 0xbf65296c, v64 :: v_dual_add_f32 v44, v44, v47
	v_mul_f32_e32 v47, 0x3ee437d1, v20
	v_add_f32_e32 v41, v41, v42
	v_add_f32_e32 v42, v46, v50
	s_delay_alu instid0(VALU_DEP_4) | instskip(SKIP_1) | instid1(VALU_DEP_2)
	v_fmamk_f32 v60, v63, 0x3ee437d1, v43
	v_fma_f32 v43, 0x3ee437d1, v63, -v43
	v_dual_add_f32 v46, v60, v51 :: v_dual_fmamk_f32 v51, v17, 0x3f65296c, v47
	v_fmac_f32_e32 v47, 0xbf65296c, v17
	s_delay_alu instid0(VALU_DEP_1) | instskip(NEXT) | instid1(VALU_DEP_1)
	v_dual_mul_f32 v50, 0xbf06c442, v64 :: v_dual_add_f32 v47, v47, v49
	v_dual_mul_f32 v60, 0xbf59a7d5, v20 :: v_dual_fmamk_f32 v65, v63, 0xbf59a7d5, v50
	s_delay_alu instid0(VALU_DEP_4) | instskip(SKIP_2) | instid1(VALU_DEP_4)
	v_add_f32_e32 v51, v51, v52
	v_add_f32_e32 v43, v43, v48
	v_mul_f32_e32 v52, 0x3f4c4adb, v64
	v_fmamk_f32 v48, v17, 0x3f06c442, v60
	v_dual_fmac_f32 v60, 0xbf06c442, v17 :: v_dual_add_f32 v49, v65, v55
	v_fma_f32 v50, 0xbf59a7d5, v63, -v50
	s_delay_alu instid0(VALU_DEP_3) | instskip(SKIP_2) | instid1(VALU_DEP_4)
	v_dual_mul_f32 v55, 0xbf1a4643, v20 :: v_dual_add_f32 v48, v48, v58
	v_fmamk_f32 v58, v63, 0xbf1a4643, v52
	v_fma_f32 v52, 0xbf1a4643, v63, -v52
	v_dual_add_f32 v50, v50, v53 :: v_dual_add_f32 v53, v60, v54
	s_delay_alu instid0(VALU_DEP_4) | instskip(NEXT) | instid1(VALU_DEP_4)
	v_fmamk_f32 v60, v17, 0xbf4c4adb, v55
	v_dual_add_f32 v56, v58, v56 :: v_dual_fmac_f32 v55, 0x3f4c4adb, v17
	v_mul_f32_e32 v54, 0x3f2c7751, v64
	s_delay_alu instid0(VALU_DEP_2) | instskip(NEXT) | instid1(VALU_DEP_2)
	v_dual_add_f32 v52, v52, v57 :: v_dual_add_f32 v55, v55, v62
	v_fmamk_f32 v58, v63, 0x3f3d2fb0, v54
	v_fma_f32 v54, 0x3f3d2fb0, v63, -v54
	s_delay_alu instid0(VALU_DEP_2) | instskip(NEXT) | instid1(VALU_DEP_2)
	v_dual_mul_f32 v20, 0x3f3d2fb0, v20 :: v_dual_add_f32 v57, v58, v61
	v_add_f32_e32 v35, v54, v35
	v_sub_f32_e32 v58, v10, v16
	v_add_f32_e32 v10, v16, v10
	s_delay_alu instid0(VALU_DEP_4) | instskip(SKIP_1) | instid1(VALU_DEP_3)
	v_dual_add_f32 v59, v60, v59 :: v_dual_fmamk_f32 v60, v17, 0xbf2c7751, v20
	v_dual_add_f32 v16, v15, v9 :: v_dual_sub_f32 v9, v9, v15
	v_mul_f32_e32 v15, 0xbe8c1d8e, v10
	v_fmac_f32_e32 v20, 0x3f2c7751, v17
	v_mul_f32_e32 v54, 0x3f06c442, v58
	v_mul_f32_e32 v61, 0xbf763a35, v58
	s_delay_alu instid0(VALU_DEP_3) | instskip(SKIP_1) | instid1(VALU_DEP_1)
	v_add_f32_e32 v18, v20, v18
	v_fmamk_f32 v20, v9, 0x3f763a35, v15
	v_dual_fmac_f32 v15, 0xbf763a35, v9 :: v_dual_add_f32 v20, v20, v31
	s_delay_alu instid0(VALU_DEP_1) | instskip(SKIP_3) | instid1(VALU_DEP_2)
	v_add_f32_e32 v15, v15, v19
	v_add_f32_e32 v17, v60, v36
	v_dual_fmamk_f32 v31, v16, 0xbf59a7d5, v54 :: v_dual_mul_f32 v60, 0xbf59a7d5, v10
	v_mul_f32_e32 v19, 0x3f2c7751, v58
	v_dual_add_f32 v30, v31, v30 :: v_dual_fmamk_f32 v31, v9, 0xbf06c442, v60
	v_fmamk_f32 v36, v16, 0xbe8c1d8e, v61
	s_delay_alu instid0(VALU_DEP_2) | instskip(NEXT) | instid1(VALU_DEP_2)
	v_dual_fmac_f32 v60, 0x3f06c442, v9 :: v_dual_add_f32 v31, v31, v34
	v_add_f32_e32 v28, v36, v28
	v_fma_f32 v36, 0xbe8c1d8e, v16, -v61
	s_delay_alu instid0(VALU_DEP_3) | instskip(NEXT) | instid1(VALU_DEP_2)
	v_dual_mul_f32 v61, 0x3f3d2fb0, v10 :: v_dual_add_f32 v34, v60, v37
	v_add_f32_e32 v32, v36, v32
	v_fma_f32 v36, 0xbf59a7d5, v16, -v54
	s_delay_alu instid0(VALU_DEP_3)
	v_fmamk_f32 v37, v9, 0xbf2c7751, v61
	v_fmac_f32_e32 v61, 0x3f2c7751, v9
	v_fmamk_f32 v54, v16, 0x3f3d2fb0, v19
	v_fma_f32 v19, 0x3f3d2fb0, v16, -v19
	v_add_f32_e32 v29, v36, v29
	v_add_f32_e32 v37, v37, v38
	s_delay_alu instid0(VALU_DEP_3) | instskip(SKIP_4) | instid1(VALU_DEP_3)
	v_add_f32_e32 v19, v19, v33
	v_dual_add_f32 v33, v61, v40 :: v_dual_add_f32 v36, v54, v39
	v_mul_f32_e32 v39, 0xbf65296c, v58
	v_mul_f32_e32 v54, 0x3ee437d1, v10
	;; [unrolled: 1-line block ×3, first 2 shown]
	v_fmamk_f32 v38, v16, 0x3ee437d1, v39
	s_delay_alu instid0(VALU_DEP_3) | instskip(SKIP_1) | instid1(VALU_DEP_3)
	v_fmamk_f32 v40, v9, 0x3f65296c, v54
	v_fma_f32 v39, 0x3ee437d1, v16, -v39
	v_dual_add_f32 v38, v38, v45 :: v_dual_mul_f32 v45, 0xbf7ba420, v10
	v_mul_f32_e32 v60, 0xbe3c28d5, v58
	s_delay_alu instid0(VALU_DEP_3) | instskip(NEXT) | instid1(VALU_DEP_2)
	v_dual_add_f32 v40, v40, v44 :: v_dual_add_f32 v39, v39, v41
	v_fmamk_f32 v44, v16, 0xbf7ba420, v60
	s_delay_alu instid0(VALU_DEP_1) | instskip(SKIP_1) | instid1(VALU_DEP_1)
	v_add_f32_e32 v44, v44, v46
	v_fmamk_f32 v46, v9, 0x3e3c28d5, v45
	v_dual_fmac_f32 v45, 0xbe3c28d5, v9 :: v_dual_add_f32 v46, v46, v51
	v_mul_f32_e32 v51, 0xbeb8f4ab, v58
	s_delay_alu instid0(VALU_DEP_2) | instskip(NEXT) | instid1(VALU_DEP_1)
	v_dual_add_f32 v45, v45, v47 :: v_dual_fmac_f32 v54, 0xbf65296c, v9
	v_add_f32_e32 v41, v54, v42
	v_mul_f32_e32 v42, 0x3f7ee86f, v58
	v_fma_f32 v54, 0xbf7ba420, v16, -v60
	v_mul_f32_e32 v58, 0xbf4c4adb, v58
	s_delay_alu instid0(VALU_DEP_2) | instskip(SKIP_1) | instid1(VALU_DEP_2)
	v_dual_fmamk_f32 v60, v16, 0x3dbcf732, v42 :: v_dual_add_f32 v43, v54, v43
	v_mul_f32_e32 v54, 0x3f6eb680, v10
	v_dual_mul_f32 v10, 0xbf1a4643, v10 :: v_dual_add_f32 v47, v60, v49
	v_fmamk_f32 v49, v9, 0xbf7ee86f, v61
	v_fma_f32 v42, 0x3dbcf732, v16, -v42
	s_delay_alu instid0(VALU_DEP_2) | instskip(SKIP_2) | instid1(VALU_DEP_3)
	v_dual_fmac_f32 v61, 0x3f7ee86f, v9 :: v_dual_add_f32 v48, v49, v48
	v_fmamk_f32 v49, v16, 0x3f6eb680, v51
	v_fma_f32 v51, 0x3f6eb680, v16, -v51
	v_add_f32_e32 v53, v61, v53
	s_delay_alu instid0(VALU_DEP_3) | instskip(NEXT) | instid1(VALU_DEP_3)
	v_add_f32_e32 v49, v49, v56
	v_dual_add_f32 v51, v51, v52 :: v_dual_sub_f32 v52, v12, v14
	v_add_f32_e32 v42, v42, v50
	v_fmamk_f32 v50, v9, 0x3eb8f4ab, v54
	v_fmac_f32_e32 v54, 0xbeb8f4ab, v9
	v_add_f32_e32 v12, v14, v12
	v_fmamk_f32 v56, v16, 0xbf1a4643, v58
	s_delay_alu instid0(VALU_DEP_1)
	v_dual_add_f32 v54, v54, v55 :: v_dual_add_f32 v55, v56, v57
	v_fmamk_f32 v56, v9, 0x3f4c4adb, v10
	v_dual_add_f32 v57, v13, v11 :: v_dual_fmac_f32 v10, 0xbf4c4adb, v9
	v_dual_sub_f32 v9, v11, v13 :: v_dual_add_f32 v50, v50, v59
	v_mul_f32_e32 v59, 0xbf4c4adb, v52
	v_mul_f32_e32 v13, 0xbf1a4643, v12
	s_delay_alu instid0(VALU_DEP_2) | instskip(NEXT) | instid1(VALU_DEP_1)
	v_fmamk_f32 v11, v57, 0xbf1a4643, v59
	v_add_f32_e32 v11, v11, v28
	v_fma_f32 v14, 0xbf1a4643, v16, -v58
	s_delay_alu instid0(VALU_DEP_4) | instskip(SKIP_2) | instid1(VALU_DEP_4)
	v_dual_add_f32 v16, v56, v17 :: v_dual_fmamk_f32 v17, v9, 0x3f4c4adb, v13
	v_fmac_f32_e32 v13, 0xbf4c4adb, v9
	v_fma_f32 v28, 0xbf1a4643, v57, -v59
	v_dual_add_f32 v14, v14, v35 :: v_dual_mul_f32 v35, 0xbe8c1d8e, v12
	s_delay_alu instid0(VALU_DEP_4) | instskip(NEXT) | instid1(VALU_DEP_4)
	v_add_f32_e32 v17, v17, v20
	v_add_f32_e32 v13, v13, v15
	s_delay_alu instid0(VALU_DEP_3) | instskip(SKIP_2) | instid1(VALU_DEP_3)
	v_fmamk_f32 v15, v9, 0xbf763a35, v35
	v_dual_fmac_f32 v35, 0x3f763a35, v9 :: v_dual_add_f32 v10, v10, v18
	v_mul_f32_e32 v18, 0x3f763a35, v52
	v_dual_mul_f32 v56, 0xbf59a7d5, v12 :: v_dual_add_f32 v15, v15, v31
	v_mul_f32_e32 v31, 0x3f6eb680, v12
	v_add_f32_e32 v28, v28, v32
	s_delay_alu instid0(VALU_DEP_4) | instskip(SKIP_2) | instid1(VALU_DEP_2)
	v_fmamk_f32 v20, v57, 0xbe8c1d8e, v18
	v_fma_f32 v18, 0xbe8c1d8e, v57, -v18
	v_mul_f32_e32 v32, 0xbeb8f4ab, v52
	v_dual_add_f32 v18, v18, v29 :: v_dual_add_f32 v29, v35, v34
	v_fmamk_f32 v35, v9, 0x3eb8f4ab, v31
	v_dual_fmac_f32 v31, 0xbeb8f4ab, v9 :: v_dual_add_f32 v20, v20, v30
	s_delay_alu instid0(VALU_DEP_2) | instskip(NEXT) | instid1(VALU_DEP_2)
	v_add_f32_e32 v35, v35, v37
	v_add_f32_e32 v31, v31, v33
	v_fmamk_f32 v33, v9, 0x3f06c442, v56
	v_fmac_f32_e32 v56, 0xbf06c442, v9
	v_mul_f32_e32 v37, 0x3dbcf732, v12
	s_delay_alu instid0(VALU_DEP_3) | instskip(SKIP_1) | instid1(VALU_DEP_3)
	v_add_f32_e32 v33, v33, v40
	v_fmamk_f32 v30, v57, 0x3f6eb680, v32
	v_fmamk_f32 v40, v9, 0xbf7ee86f, v37
	v_fmac_f32_e32 v37, 0x3f7ee86f, v9
	v_mul_f32_e32 v34, 0xbf06c442, v52
	v_fma_f32 v32, 0x3f6eb680, v57, -v32
	s_delay_alu instid0(VALU_DEP_3) | instskip(NEXT) | instid1(VALU_DEP_2)
	v_dual_add_f32 v30, v30, v36 :: v_dual_add_f32 v37, v37, v45
	v_dual_fmamk_f32 v36, v57, 0xbf59a7d5, v34 :: v_dual_add_f32 v19, v32, v19
	v_fma_f32 v34, 0xbf59a7d5, v57, -v34
	s_delay_alu instid0(VALU_DEP_2) | instskip(SKIP_1) | instid1(VALU_DEP_3)
	v_add_f32_e32 v32, v36, v38
	v_mul_f32_e32 v36, 0x3f7ee86f, v52
	v_dual_add_f32 v34, v34, v39 :: v_dual_add_f32 v39, v56, v41
	v_mul_f32_e32 v41, 0xbf2c7751, v52
	v_mul_f32_e32 v56, 0xbf7ba420, v12
	s_delay_alu instid0(VALU_DEP_4) | instskip(SKIP_1) | instid1(VALU_DEP_1)
	v_fmamk_f32 v38, v57, 0x3dbcf732, v36
	v_fma_f32 v36, 0x3dbcf732, v57, -v36
	v_dual_add_f32 v36, v36, v43 :: v_dual_mul_f32 v43, 0xbe3c28d5, v52
	v_add_f32_e32 v40, v40, v46
	v_mul_f32_e32 v46, 0x3f3d2fb0, v12
	v_add_f32_e32 v38, v38, v44
	v_fmamk_f32 v44, v57, 0x3f3d2fb0, v41
	v_fma_f32 v41, 0x3f3d2fb0, v57, -v41
	v_mul_f32_e32 v12, 0x3ee437d1, v12
	v_fmamk_f32 v45, v9, 0x3f2c7751, v46
	v_fmac_f32_e32 v46, 0xbf2c7751, v9
	v_dual_add_f32 v44, v44, v47 :: v_dual_fmamk_f32 v47, v57, 0xbf7ba420, v43
	v_add_f32_e32 v41, v41, v42
	s_delay_alu instid0(VALU_DEP_4)
	v_add_f32_e32 v45, v45, v48
	v_mul_f32_e32 v48, 0x3f65296c, v52
	v_add_f32_e32 v42, v46, v53
	v_sub_f32_e32 v52, v2, v8
	v_add_f32_e32 v2, v8, v2
	v_dual_add_f32 v46, v47, v49 :: v_dual_fmamk_f32 v47, v9, 0x3e3c28d5, v56
	v_fmamk_f32 v49, v57, 0x3ee437d1, v48
	v_fma_f32 v48, 0x3ee437d1, v57, -v48
	v_fmac_f32_e32 v56, 0xbe3c28d5, v9
	v_fma_f32 v43, 0xbf7ba420, v57, -v43
	v_dual_add_f32 v47, v47, v50 :: v_dual_fmamk_f32 v50, v9, 0xbf65296c, v12
	v_dual_fmac_f32 v12, 0x3f65296c, v9 :: v_dual_add_f32 v49, v49, v55
	s_delay_alu instid0(VALU_DEP_2) | instskip(SKIP_3) | instid1(VALU_DEP_2)
	v_dual_add_f32 v43, v43, v51 :: v_dual_add_f32 v16, v50, v16
	v_dual_add_f32 v50, v7, v1 :: v_dual_sub_f32 v1, v1, v7
	v_mul_f32_e32 v7, 0xbf59a7d5, v2
	v_add_f32_e32 v14, v48, v14
	v_fmamk_f32 v48, v1, 0x3f06c442, v7
	v_fmac_f32_e32 v7, 0xbf06c442, v1
	s_delay_alu instid0(VALU_DEP_2) | instskip(NEXT) | instid1(VALU_DEP_2)
	v_add_f32_e32 v17, v48, v17
	v_add_f32_e32 v7, v7, v13
	v_dual_mul_f32 v13, 0xbf7ee86f, v52 :: v_dual_add_f32 v10, v12, v10
	v_mul_f32_e32 v12, 0x3f65296c, v52
	s_delay_alu instid0(VALU_DEP_2) | instskip(SKIP_1) | instid1(VALU_DEP_1)
	v_fmamk_f32 v53, v50, 0x3dbcf732, v13
	v_fma_f32 v13, 0x3dbcf732, v50, -v13
	v_dual_mul_f32 v8, 0xbf06c442, v52 :: v_dual_add_f32 v13, v13, v19
	s_delay_alu instid0(VALU_DEP_1) | instskip(SKIP_1) | instid1(VALU_DEP_2)
	v_fmamk_f32 v9, v50, 0xbf59a7d5, v8
	v_fma_f32 v8, 0xbf59a7d5, v50, -v8
	v_dual_mul_f32 v48, 0x3ee437d1, v2 :: v_dual_add_f32 v9, v9, v11
	s_delay_alu instid0(VALU_DEP_2) | instskip(NEXT) | instid1(VALU_DEP_1)
	v_dual_fmamk_f32 v11, v50, 0x3ee437d1, v12 :: v_dual_add_f32 v8, v8, v28
	v_dual_mul_f32 v28, 0x3dbcf732, v2 :: v_dual_add_f32 v11, v11, v20
	s_delay_alu instid0(VALU_DEP_3) | instskip(NEXT) | instid1(VALU_DEP_1)
	v_dual_fmamk_f32 v20, v1, 0xbf65296c, v48 :: v_dual_add_f32 v51, v56, v54
	v_dual_fmac_f32 v48, 0x3f65296c, v1 :: v_dual_add_f32 v15, v20, v15
	s_delay_alu instid0(VALU_DEP_3) | instskip(SKIP_1) | instid1(VALU_DEP_2)
	v_fmamk_f32 v20, v1, 0x3f7ee86f, v28
	v_fmac_f32_e32 v28, 0xbf7ee86f, v1
	v_dual_add_f32 v20, v20, v35 :: v_dual_mul_f32 v35, 0xbf1a4643, v2
	s_delay_alu instid0(VALU_DEP_2) | instskip(NEXT) | instid1(VALU_DEP_2)
	v_add_f32_e32 v19, v28, v31
	v_fmamk_f32 v31, v1, 0xbf4c4adb, v35
	v_fmac_f32_e32 v35, 0x3f4c4adb, v1
	s_delay_alu instid0(VALU_DEP_2) | instskip(SKIP_3) | instid1(VALU_DEP_3)
	v_add_f32_e32 v31, v31, v33
	v_fma_f32 v12, 0x3ee437d1, v50, -v12
	v_mul_f32_e32 v33, 0x3f6eb680, v2
	v_mul_f32_e32 v28, 0xbeb8f4ab, v52
	v_add_f32_e32 v12, v12, v18
	v_dual_add_f32 v18, v48, v29 :: v_dual_add_f32 v29, v53, v30
	v_mul_f32_e32 v30, 0x3f4c4adb, v52
	s_delay_alu instid0(VALU_DEP_1) | instskip(SKIP_1) | instid1(VALU_DEP_2)
	v_fmamk_f32 v48, v50, 0xbf1a4643, v30
	v_fma_f32 v30, 0xbf1a4643, v50, -v30
	v_add_f32_e32 v32, v48, v32
	s_delay_alu instid0(VALU_DEP_2) | instskip(SKIP_4) | instid1(VALU_DEP_4)
	v_add_f32_e32 v30, v30, v34
	v_dual_add_f32 v34, v35, v39 :: v_dual_fmamk_f32 v39, v1, 0x3eb8f4ab, v33
	v_fmac_f32_e32 v33, 0xbeb8f4ab, v1
	v_fmamk_f32 v48, v50, 0x3f6eb680, v28
	v_fma_f32 v28, 0x3f6eb680, v50, -v28
	v_add_f32_e32 v39, v39, v40
	s_delay_alu instid0(VALU_DEP_3) | instskip(SKIP_3) | instid1(VALU_DEP_3)
	v_dual_mul_f32 v40, 0x3f2c7751, v52 :: v_dual_add_f32 v35, v48, v38
	v_mul_f32_e32 v38, 0xbe3c28d5, v52
	v_mul_f32_e32 v48, 0xbf7ba420, v2
	v_dual_add_f32 v28, v28, v36 :: v_dual_add_f32 v33, v33, v37
	v_fmamk_f32 v53, v50, 0xbf7ba420, v38
	s_delay_alu instid0(VALU_DEP_3) | instskip(SKIP_1) | instid1(VALU_DEP_3)
	v_fmamk_f32 v36, v1, 0x3e3c28d5, v48
	v_fma_f32 v38, 0xbf7ba420, v50, -v38
	v_dual_fmac_f32 v48, 0xbe3c28d5, v1 :: v_dual_add_f32 v37, v53, v44
	s_delay_alu instid0(VALU_DEP_3) | instskip(SKIP_1) | instid1(VALU_DEP_3)
	v_add_f32_e32 v36, v36, v45
	v_dual_mul_f32 v44, 0x3f3d2fb0, v2 :: v_dual_fmamk_f32 v45, v50, 0x3f3d2fb0, v40
	v_dual_add_f32 v38, v38, v41 :: v_dual_add_f32 v41, v48, v42
	v_mul_f32_e32 v42, 0xbf763a35, v52
	s_delay_alu instid0(VALU_DEP_3) | instskip(NEXT) | instid1(VALU_DEP_4)
	v_fmamk_f32 v48, v1, 0xbf2c7751, v44
	v_add_f32_e32 v45, v45, v46
	v_fma_f32 v40, 0x3f3d2fb0, v50, -v40
	v_fmac_f32_e32 v44, 0x3f2c7751, v1
	v_fmamk_f32 v46, v50, 0xbe8c1d8e, v42
	v_mul_f32_e32 v2, 0xbe8c1d8e, v2
	v_fma_f32 v42, 0xbe8c1d8e, v50, -v42
	v_add_f32_e32 v50, v5, v3
	v_add_f32_e32 v40, v40, v43
	;; [unrolled: 1-line block ×3, first 2 shown]
	v_sub_f32_e32 v51, v3, v5
	v_add_f32_e32 v44, v46, v49
	v_add_f32_e32 v49, v6, v4
	;; [unrolled: 1-line block ×3, first 2 shown]
	v_sub_f32_e32 v46, v4, v6
	v_fmamk_f32 v48, v1, 0x3f763a35, v2
	v_fmac_f32_e32 v2, 0xbf763a35, v1
	v_dual_mul_f32 v5, 0xbf7ba420, v49 :: v_dual_add_f32 v42, v42, v14
	s_delay_alu instid0(VALU_DEP_2) | instskip(NEXT) | instid1(VALU_DEP_2)
	v_add_f32_e32 v52, v2, v10
	v_fmamk_f32 v2, v51, 0x3e3c28d5, v5
	v_fmac_f32_e32 v5, 0xbe3c28d5, v51
	v_mul_f32_e32 v10, 0x3f6eb680, v49
	s_delay_alu instid0(VALU_DEP_3) | instskip(SKIP_4) | instid1(VALU_DEP_3)
	v_add_f32_e32 v2, v2, v17
	v_mul_f32_e32 v17, 0x3f3d2fb0, v49
	v_mul_f32_e32 v4, 0xbe3c28d5, v46
	;; [unrolled: 1-line block ×4, first 2 shown]
	v_fmamk_f32 v1, v50, 0xbf7ba420, v4
	v_fma_f32 v3, 0xbf7ba420, v50, -v4
	v_dual_add_f32 v4, v5, v7 :: v_dual_fmamk_f32 v7, v51, 0xbeb8f4ab, v10
	s_delay_alu instid0(VALU_DEP_3) | instskip(SKIP_1) | instid1(VALU_DEP_4)
	v_dual_fmac_f32 v10, 0x3eb8f4ab, v51 :: v_dual_add_f32 v1, v1, v9
	v_fmamk_f32 v9, v50, 0x3f6eb680, v6
	v_add_f32_e32 v3, v3, v8
	s_delay_alu instid0(VALU_DEP_2) | instskip(SKIP_1) | instid1(VALU_DEP_1)
	v_add_f32_e32 v5, v9, v11
	v_fmamk_f32 v9, v50, 0xbf59a7d5, v14
	v_add_f32_e32 v9, v9, v29
	v_mul_f32_e32 v29, 0x3f65296c, v46
	v_fma_f32 v8, 0x3f6eb680, v50, -v6
	v_dual_add_f32 v6, v7, v15 :: v_dual_mul_f32 v15, 0x3f2c7751, v46
	v_fma_f32 v11, 0xbf59a7d5, v50, -v14
	s_delay_alu instid0(VALU_DEP_3)
	v_dual_add_f32 v7, v8, v12 :: v_dual_add_f32 v8, v10, v18
	v_mul_f32_e32 v18, 0xbf4c4adb, v46
	v_add_f32_e32 v48, v48, v16
	v_mul_f32_e32 v16, 0xbf59a7d5, v49
	v_fmamk_f32 v14, v50, 0x3f3d2fb0, v15
	v_fma_f32 v15, 0x3f3d2fb0, v50, -v15
	v_add_f32_e32 v11, v11, v13
	s_delay_alu instid0(VALU_DEP_4) | instskip(NEXT) | instid1(VALU_DEP_4)
	v_fmamk_f32 v10, v51, 0x3f06c442, v16
	v_dual_fmac_f32 v16, 0xbf06c442, v51 :: v_dual_add_f32 v13, v14, v32
	s_delay_alu instid0(VALU_DEP_4) | instskip(SKIP_1) | instid1(VALU_DEP_4)
	v_add_f32_e32 v15, v15, v30
	v_fma_f32 v30, 0xbf1a4643, v50, -v18
	v_add_f32_e32 v10, v10, v20
	s_delay_alu instid0(VALU_DEP_4) | instskip(SKIP_4) | instid1(VALU_DEP_4)
	v_add_f32_e32 v12, v16, v19
	v_fmamk_f32 v16, v51, 0xbf2c7751, v17
	v_fmac_f32_e32 v17, 0x3f2c7751, v51
	v_dual_fmamk_f32 v19, v50, 0xbf1a4643, v18 :: v_dual_mul_f32 v20, 0xbf1a4643, v49
	v_mul_f32_e32 v32, 0x3ee437d1, v49
	v_add_f32_e32 v14, v16, v31
	s_delay_alu instid0(VALU_DEP_3) | instskip(NEXT) | instid1(VALU_DEP_4)
	v_dual_add_f32 v16, v17, v34 :: v_dual_add_f32 v17, v19, v35
	v_fmamk_f32 v19, v51, 0x3f4c4adb, v20
	v_fmac_f32_e32 v20, 0xbf4c4adb, v51
	v_fmamk_f32 v31, v50, 0x3ee437d1, v29
	s_delay_alu instid0(VALU_DEP_3) | instskip(NEXT) | instid1(VALU_DEP_3)
	v_dual_mul_f32 v35, 0xbe8c1d8e, v49 :: v_dual_add_f32 v18, v19, v39
	v_dual_add_f32 v19, v30, v28 :: v_dual_add_f32 v20, v20, v33
	s_delay_alu instid0(VALU_DEP_3)
	v_add_f32_e32 v28, v31, v37
	v_fmamk_f32 v30, v51, 0xbf65296c, v32
	v_mul_f32_e32 v33, 0xbf763a35, v46
	v_fma_f32 v31, 0x3ee437d1, v50, -v29
	v_fmac_f32_e32 v32, 0x3f65296c, v51
	v_mul_f32_e32 v39, 0x3dbcf732, v49
	v_add_f32_e32 v29, v30, v36
	v_fmamk_f32 v34, v50, 0xbe8c1d8e, v33
	v_add_f32_e32 v30, v31, v38
	v_fmamk_f32 v36, v51, 0x3f763a35, v35
	v_fma_f32 v37, 0xbe8c1d8e, v50, -v33
	v_dual_mul_f32 v38, 0x3f7ee86f, v46 :: v_dual_add_f32 v31, v32, v41
	s_delay_alu instid0(VALU_DEP_3) | instskip(NEXT) | instid1(VALU_DEP_3)
	v_dual_add_f32 v32, v34, v45 :: v_dual_add_f32 v33, v36, v47
	v_add_f32_e32 v34, v37, v40
	s_delay_alu instid0(VALU_DEP_3) | instskip(SKIP_3) | instid1(VALU_DEP_4)
	v_fmamk_f32 v36, v50, 0x3dbcf732, v38
	v_fmamk_f32 v37, v51, 0xbf7ee86f, v39
	v_fma_f32 v38, 0x3dbcf732, v50, -v38
	v_fmac_f32_e32 v39, 0x3f7ee86f, v51
	v_dual_fmac_f32 v35, 0xbf763a35, v51 :: v_dual_add_f32 v36, v36, v44
	s_delay_alu instid0(VALU_DEP_3) | instskip(NEXT) | instid1(VALU_DEP_3)
	v_dual_add_f32 v37, v37, v48 :: v_dual_add_f32 v38, v38, v42
	v_add_f32_e32 v39, v39, v52
	s_delay_alu instid0(VALU_DEP_3)
	v_add_f32_e32 v35, v35, v43
	ds_store_2addr_b64 v27, v[22:23], v[1:2] offset1:1
	ds_store_2addr_b64 v27, v[5:6], v[9:10] offset0:2 offset1:3
	ds_store_2addr_b64 v27, v[13:14], v[17:18] offset0:4 offset1:5
	;; [unrolled: 1-line block ×7, first 2 shown]
	ds_store_b64 v27, v[3:4] offset:128
	v_lshlrev_b32_e32 v9, 7, v26
	global_wb scope:SCOPE_SE
	s_wait_dscnt 0x0
	s_barrier_signal -1
	s_barrier_wait -1
	global_inv scope:SCOPE_SE
	s_clause 0x7
	global_load_b128 v[1:4], v9, s[4:5]
	global_load_b128 v[5:8], v9, s[4:5] offset:16
	global_load_b128 v[10:13], v9, s[4:5] offset:32
	;; [unrolled: 1-line block ×7, first 2 shown]
	ds_load_2addr_b64 v[14:17], v24 offset0:17 offset1:34
	ds_load_2addr_b32 v[19:20], v24 offset0:102 offset1:103
	ds_load_2addr_b64 v[46:49], v24 offset0:68 offset1:85
	ds_load_b64 v[22:23], v25
	ds_load_2addr_b64 v[50:53], v24 offset0:102 offset1:119
	ds_load_2addr_b64 v[54:57], v24 offset0:136 offset1:153
	;; [unrolled: 1-line block ×5, first 2 shown]
	ds_load_b64 v[70:71], v24 offset:2176
	global_wb scope:SCOPE_SE
	s_wait_loadcnt_dscnt 0x0
	s_barrier_signal -1
	s_barrier_wait -1
	global_inv scope:SCOPE_SE
	s_mul_u64 s[4:5], s[0:1], s[6:7]
	s_mul_u64 s[6:7], s[10:11], s[8:9]
	v_mul_f32_e32 v25, v2, v15
	v_mul_f32_e32 v2, v2, v14
	;; [unrolled: 1-line block ×3, first 2 shown]
	s_delay_alu instid0(VALU_DEP_3) | instskip(NEXT) | instid1(VALU_DEP_3)
	v_dual_mul_f32 v72, v4, v17 :: v_dual_fmac_f32 v25, v1, v14
	v_fma_f32 v1, v1, v15, -v2
	v_mul_f32_e32 v2, v6, v19
	s_delay_alu instid0(VALU_DEP_4) | instskip(SKIP_2) | instid1(VALU_DEP_4)
	v_dual_mul_f32 v4, v4, v16 :: v_dual_fmac_f32 v73, v5, v19
	v_mul_f32_e32 v19, v47, v8
	v_mul_f32_e32 v15, v49, v11
	v_fma_f32 v75, v20, v5, -v2
	v_mul_f32_e32 v2, v46, v8
	v_fma_f32 v74, v3, v17, -v4
	v_fmac_f32_e32 v19, v46, v7
	v_dual_mul_f32 v17, v63, v37 :: v_dual_mul_f32 v4, v52, v27
	s_delay_alu instid0(VALU_DEP_4) | instskip(SKIP_2) | instid1(VALU_DEP_4)
	v_fma_f32 v20, v47, v7, -v2
	v_mul_f32_e32 v7, v53, v27
	v_mul_f32_e32 v27, v65, v39
	v_fmac_f32_e32 v17, v62, v36
	v_dual_fmac_f32 v72, v3, v16 :: v_dual_mul_f32 v3, v48, v11
	v_mul_f32_e32 v11, v51, v13
	s_delay_alu instid0(VALU_DEP_4) | instskip(SKIP_1) | instid1(VALU_DEP_4)
	v_fmac_f32_e32 v27, v64, v38
	v_dual_fmac_f32 v15, v48, v10 :: v_dual_mul_f32 v2, v50, v13
	v_fma_f32 v16, v49, v10, -v3
	v_add_f32_e32 v3, v25, v22
	v_fmac_f32_e32 v11, v50, v12
	v_fmac_f32_e32 v7, v52, v26
	v_dual_mul_f32 v13, v58, v33 :: v_dual_mul_f32 v18, v60, v35
	s_delay_alu instid0(VALU_DEP_4) | instskip(SKIP_2) | instid1(VALU_DEP_3)
	v_add_f32_e32 v5, v3, v72
	v_mul_f32_e32 v3, v55, v29
	v_fma_f32 v8, v53, v26, -v4
	v_add_f32_e32 v5, v5, v73
	s_delay_alu instid0(VALU_DEP_3) | instskip(NEXT) | instid1(VALU_DEP_2)
	v_fmac_f32_e32 v3, v54, v28
	v_add_f32_e32 v9, v5, v19
	s_delay_alu instid0(VALU_DEP_1) | instskip(SKIP_2) | instid1(VALU_DEP_3)
	v_dual_add_f32 v10, v9, v15 :: v_dual_mul_f32 v9, v59, v33
	v_mul_f32_e32 v33, v68, v43
	v_fma_f32 v12, v51, v12, -v2
	v_add_f32_e32 v14, v10, v11
	v_fma_f32 v10, v59, v32, -v13
	v_mul_f32_e32 v13, v61, v35
	v_fmac_f32_e32 v9, v58, v32
	v_mul_f32_e32 v32, v70, v45
	v_add_f32_e32 v14, v14, v7
	v_fma_f32 v33, v69, v42, -v33
	v_fmac_f32_e32 v13, v60, v34
	s_delay_alu instid0(VALU_DEP_4) | instskip(NEXT) | instid1(VALU_DEP_4)
	v_fma_f32 v32, v71, v44, -v32
	v_add_f32_e32 v26, v14, v3
	v_fma_f32 v14, v61, v34, -v18
	s_delay_alu instid0(VALU_DEP_3) | instskip(SKIP_1) | instid1(VALU_DEP_2)
	v_dual_mul_f32 v34, v71, v45 :: v_dual_sub_f32 v35, v1, v32
	v_mul_f32_e32 v18, v62, v37
	v_fmac_f32_e32 v34, v70, v44
	v_mul_f32_e32 v6, v54, v29
	v_dual_mul_f32 v29, v67, v41 :: v_dual_add_f32 v2, v1, v23
	v_mul_f32_e32 v47, 0xbf7ee86f, v35
	v_fma_f32 v18, v63, v36, -v18
	v_add_f32_e32 v36, v1, v32
	s_delay_alu instid0(VALU_DEP_4)
	v_fmac_f32_e32 v29, v66, v40
	v_add_f32_e32 v2, v2, v74
	v_mul_f32_e32 v4, v57, v31
	v_add_f32_e32 v37, v25, v34
	v_sub_f32_e32 v25, v25, v34
	v_fma_f32 v5, v55, v28, -v6
	v_mul_f32_e32 v6, v56, v31
	v_dual_mul_f32 v28, v64, v39 :: v_dual_mul_f32 v53, 0xbe8c1d8e, v36
	v_dual_mul_f32 v39, 0x3f6eb680, v36 :: v_dual_fmac_f32 v4, v56, v30
	v_fmamk_f32 v49, v37, 0x3dbcf732, v47
	s_delay_alu instid0(VALU_DEP_4) | instskip(SKIP_2) | instid1(VALU_DEP_4)
	v_fma_f32 v6, v57, v30, -v6
	v_dual_mul_f32 v30, v66, v41 :: v_dual_mul_f32 v41, 0x3f3d2fb0, v36
	v_mul_f32_e32 v51, 0xbf763a35, v35
	v_dual_add_f32 v49, v49, v22 :: v_dual_add_f32 v26, v26, v4
	v_fma_f32 v47, 0x3dbcf732, v37, -v47
	v_mul_f32_e32 v57, 0xbf1a4643, v36
	s_delay_alu instid0(VALU_DEP_4) | instskip(SKIP_1) | instid1(VALU_DEP_4)
	v_fmamk_f32 v52, v37, 0xbe8c1d8e, v51
	v_fma_f32 v51, 0xbe8c1d8e, v37, -v51
	v_dual_add_f32 v26, v26, v9 :: v_dual_add_f32 v47, v47, v22
	v_mul_f32_e32 v31, v69, v43
	v_mul_f32_e32 v59, 0xbf06c442, v35
	s_delay_alu instid0(VALU_DEP_3) | instskip(NEXT) | instid1(VALU_DEP_3)
	v_dual_add_f32 v51, v51, v22 :: v_dual_add_f32 v26, v26, v13
	v_dual_add_f32 v2, v2, v75 :: v_dual_fmac_f32 v31, v68, v42
	s_delay_alu instid0(VALU_DEP_3) | instskip(SKIP_1) | instid1(VALU_DEP_4)
	v_fmamk_f32 v61, v37, 0xbf59a7d5, v59
	v_fma_f32 v59, 0xbf59a7d5, v37, -v59
	v_dual_add_f32 v26, v26, v17 :: v_dual_fmamk_f32 v43, v25, 0x3f2c7751, v41
	s_delay_alu instid0(VALU_DEP_3) | instskip(NEXT) | instid1(VALU_DEP_2)
	v_dual_mul_f32 v48, 0x3dbcf732, v36 :: v_dual_add_f32 v61, v61, v22
	v_dual_add_f32 v59, v59, v22 :: v_dual_add_f32 v26, v26, v27
	v_fmac_f32_e32 v41, 0xbf2c7751, v25
	v_mul_f32_e32 v45, 0x3ee437d1, v36
	s_delay_alu instid0(VALU_DEP_4) | instskip(NEXT) | instid1(VALU_DEP_4)
	v_dual_add_f32 v43, v43, v23 :: v_dual_fmamk_f32 v50, v25, 0x3f7ee86f, v48
	v_add_f32_e32 v26, v26, v29
	s_delay_alu instid0(VALU_DEP_4) | instskip(SKIP_1) | instid1(VALU_DEP_3)
	v_dual_fmac_f32 v48, 0xbf7ee86f, v25 :: v_dual_add_f32 v41, v41, v23
	v_dual_sub_f32 v64, v74, v33 :: v_dual_fmamk_f32 v55, v25, 0x3f763a35, v53
	v_add_f32_e32 v26, v26, v31
	s_delay_alu instid0(VALU_DEP_3)
	v_add_f32_e32 v48, v48, v23
	v_fmamk_f32 v46, v25, 0x3f65296c, v45
	v_fmac_f32_e32 v45, 0xbf65296c, v25
	v_fmac_f32_e32 v53, 0xbf763a35, v25
	v_dual_add_f32 v1, v26, v34 :: v_dual_fmamk_f32 v26, v25, 0x3eb8f4ab, v39
	v_dual_fmac_f32 v39, 0xbeb8f4ab, v25 :: v_dual_add_f32 v2, v2, v20
	s_delay_alu instid0(VALU_DEP_4) | instskip(SKIP_1) | instid1(VALU_DEP_3)
	v_dual_add_f32 v45, v45, v23 :: v_dual_mul_f32 v60, 0xbf59a7d5, v36
	v_fma_f32 v28, v65, v38, -v28
	v_dual_add_f32 v39, v39, v23 :: v_dual_add_f32 v2, v2, v16
	v_add_f32_e32 v53, v53, v23
	s_delay_alu instid0(VALU_DEP_4) | instskip(SKIP_1) | instid1(VALU_DEP_4)
	v_fmamk_f32 v62, v25, 0x3f06c442, v60
	v_dual_fmac_f32 v60, 0xbf06c442, v25 :: v_dual_add_f32 v55, v55, v23
	v_add_f32_e32 v2, v2, v12
	v_fma_f32 v30, v67, v40, -v30
	v_mul_f32_e32 v38, 0xbeb8f4ab, v35
	s_delay_alu instid0(VALU_DEP_4)
	v_add_f32_e32 v60, v60, v23
	v_fmamk_f32 v58, v25, 0x3f4c4adb, v57
	v_dual_add_f32 v2, v2, v8 :: v_dual_fmac_f32 v57, 0xbf4c4adb, v25
	v_mul_f32_e32 v42, 0xbf65296c, v35
	v_add_f32_e32 v62, v62, v23
	v_mul_f32_e32 v36, 0xbf7ba420, v36
	s_delay_alu instid0(VALU_DEP_4) | instskip(NEXT) | instid1(VALU_DEP_4)
	v_dual_add_f32 v2, v2, v5 :: v_dual_mul_f32 v67, 0xbf2c7751, v64
	v_fmamk_f32 v44, v37, 0x3ee437d1, v42
	s_delay_alu instid0(VALU_DEP_3) | instskip(NEXT) | instid1(VALU_DEP_3)
	v_dual_add_f32 v26, v26, v23 :: v_dual_fmamk_f32 v65, v25, 0x3e3c28d5, v36
	v_add_f32_e32 v2, v2, v6
	v_dual_fmac_f32 v36, 0xbe3c28d5, v25 :: v_dual_sub_f32 v25, v72, v31
	v_add_f32_e32 v66, v72, v31
	v_add_f32_e32 v46, v46, v23
	s_delay_alu instid0(VALU_DEP_4) | instskip(SKIP_3) | instid1(VALU_DEP_4)
	v_add_f32_e32 v2, v2, v10
	v_add_f32_e32 v58, v58, v23
	;; [unrolled: 1-line block ×3, first 2 shown]
	v_fmamk_f32 v31, v66, 0x3f3d2fb0, v67
	v_dual_add_f32 v65, v65, v23 :: v_dual_add_f32 v2, v2, v14
	v_fma_f32 v42, 0x3ee437d1, v37, -v42
	v_add_f32_e32 v52, v52, v22
	s_delay_alu instid0(VALU_DEP_3) | instskip(NEXT) | instid1(VALU_DEP_1)
	v_add_f32_e32 v2, v2, v18
	v_add_f32_e32 v2, v2, v28
	s_delay_alu instid0(VALU_DEP_1) | instskip(NEXT) | instid1(VALU_DEP_1)
	v_add_f32_e32 v2, v2, v30
	v_add_f32_e32 v2, v2, v33
	v_dual_add_f32 v33, v74, v33 :: v_dual_fmamk_f32 v40, v37, 0x3f6eb680, v38
	v_fma_f32 v38, 0x3f6eb680, v37, -v38
	v_add_f32_e32 v44, v44, v22
	v_add_f32_e32 v50, v50, v23
	;; [unrolled: 1-line block ×5, first 2 shown]
	v_fma_f32 v36, 0x3f3d2fb0, v66, -v67
	v_dual_mul_f32 v67, 0x3dbcf732, v33 :: v_dual_add_f32 v2, v2, v32
	s_delay_alu instid0(VALU_DEP_4) | instskip(NEXT) | instid1(VALU_DEP_3)
	v_dual_mul_f32 v32, 0xbf2c7751, v35 :: v_dual_add_f32 v31, v31, v34
	v_add_f32_e32 v36, v36, v38
	s_delay_alu instid0(VALU_DEP_3) | instskip(SKIP_1) | instid1(VALU_DEP_4)
	v_fmamk_f32 v38, v25, 0x3f7ee86f, v67
	v_dual_add_f32 v42, v42, v22 :: v_dual_fmac_f32 v67, 0xbf7ee86f, v25
	v_fmamk_f32 v40, v37, 0x3f3d2fb0, v32
	v_fma_f32 v32, 0x3f3d2fb0, v37, -v32
	s_delay_alu instid0(VALU_DEP_4) | instskip(SKIP_3) | instid1(VALU_DEP_3)
	v_dual_add_f32 v38, v38, v43 :: v_dual_mul_f32 v43, 0xbf1a4643, v33
	v_mul_f32_e32 v54, 0xbf4c4adb, v35
	v_mul_f32_e32 v35, 0xbe3c28d5, v35
	;; [unrolled: 1-line block ×3, first 2 shown]
	v_fmamk_f32 v56, v37, 0xbf1a4643, v54
	v_fma_f32 v54, 0xbf1a4643, v37, -v54
	s_delay_alu instid0(VALU_DEP_4) | instskip(SKIP_4) | instid1(VALU_DEP_3)
	v_fmamk_f32 v63, v37, 0xbf7ba420, v35
	v_fma_f32 v35, 0xbf7ba420, v37, -v35
	v_dual_mul_f32 v37, 0x3f3d2fb0, v33 :: v_dual_add_f32 v40, v40, v22
	v_add_f32_e32 v56, v56, v22
	v_add_f32_e32 v54, v54, v22
	v_dual_add_f32 v63, v63, v22 :: v_dual_fmamk_f32 v34, v25, 0x3f2c7751, v37
	v_dual_fmac_f32 v37, 0xbf2c7751, v25 :: v_dual_add_f32 v32, v32, v22
	v_dual_add_f32 v22, v35, v22 :: v_dual_mul_f32 v35, 0xbf7ee86f, v64
	s_delay_alu instid0(VALU_DEP_2) | instskip(SKIP_1) | instid1(VALU_DEP_3)
	v_dual_add_f32 v26, v34, v26 :: v_dual_add_f32 v37, v37, v39
	v_mul_f32_e32 v39, 0xbf4c4adb, v64
	v_fmamk_f32 v34, v66, 0x3dbcf732, v35
	v_fma_f32 v35, 0x3dbcf732, v66, -v35
	s_delay_alu instid0(VALU_DEP_2) | instskip(NEXT) | instid1(VALU_DEP_2)
	v_add_f32_e32 v34, v34, v40
	v_add_f32_e32 v32, v35, v32
	v_add_f32_e32 v35, v67, v41
	v_mul_f32_e32 v41, 0xbe3c28d5, v64
	v_fmamk_f32 v40, v66, 0xbf1a4643, v39
	v_fma_f32 v39, 0xbf1a4643, v66, -v39
	s_delay_alu instid0(VALU_DEP_3) | instskip(SKIP_1) | instid1(VALU_DEP_3)
	v_fmamk_f32 v67, v66, 0xbf7ba420, v41
	v_fma_f32 v41, 0xbf7ba420, v66, -v41
	v_dual_add_f32 v40, v40, v44 :: v_dual_add_f32 v39, v39, v42
	s_delay_alu instid0(VALU_DEP_2) | instskip(SKIP_1) | instid1(VALU_DEP_1)
	v_add_f32_e32 v41, v41, v47
	v_fmamk_f32 v44, v25, 0x3f4c4adb, v43
	v_dual_fmac_f32 v43, 0xbf4c4adb, v25 :: v_dual_add_f32 v44, v44, v46
	s_delay_alu instid0(VALU_DEP_1) | instskip(SKIP_4) | instid1(VALU_DEP_3)
	v_add_f32_e32 v42, v43, v45
	v_add_f32_e32 v43, v67, v49
	v_fmamk_f32 v45, v25, 0x3e3c28d5, v68
	v_fmac_f32_e32 v68, 0xbe3c28d5, v25
	v_mul_f32_e32 v49, 0xbf59a7d5, v33
	v_add_f32_e32 v45, v45, v50
	s_delay_alu instid0(VALU_DEP_2) | instskip(SKIP_2) | instid1(VALU_DEP_3)
	v_dual_add_f32 v47, v68, v48 :: v_dual_fmamk_f32 v48, v25, 0xbf06c442, v49
	v_fmac_f32_e32 v49, 0x3f06c442, v25
	v_mul_f32_e32 v68, 0x3ee437d1, v33
	v_dual_add_f32 v48, v48, v55 :: v_dual_mul_f32 v55, 0xbe8c1d8e, v33
	s_delay_alu instid0(VALU_DEP_3) | instskip(SKIP_1) | instid1(VALU_DEP_3)
	v_add_f32_e32 v49, v49, v53
	v_mul_f32_e32 v33, 0x3f6eb680, v33
	v_fmamk_f32 v53, v25, 0xbf763a35, v55
	v_mul_f32_e32 v46, 0x3f06c442, v64
	v_fmac_f32_e32 v55, 0x3f763a35, v25
	v_mul_f32_e32 v67, 0x3f763a35, v64
	s_delay_alu instid0(VALU_DEP_3) | instskip(SKIP_1) | instid1(VALU_DEP_4)
	v_dual_add_f32 v53, v53, v58 :: v_dual_fmamk_f32 v50, v66, 0xbf59a7d5, v46
	v_fma_f32 v46, 0xbf59a7d5, v66, -v46
	v_add_f32_e32 v55, v55, v57
	v_fmamk_f32 v57, v25, 0xbf65296c, v68
	v_fmac_f32_e32 v68, 0x3f65296c, v25
	v_mul_f32_e32 v58, 0x3eb8f4ab, v64
	v_dual_add_f32 v46, v46, v51 :: v_dual_mul_f32 v51, 0x3f65296c, v64
	s_delay_alu instid0(VALU_DEP_4) | instskip(SKIP_3) | instid1(VALU_DEP_2)
	v_add_f32_e32 v57, v57, v62
	v_fmamk_f32 v62, v25, 0xbeb8f4ab, v33
	v_fmac_f32_e32 v33, 0x3eb8f4ab, v25
	v_dual_sub_f32 v25, v73, v29 :: v_dual_add_f32 v50, v50, v52
	v_dual_fmamk_f32 v52, v66, 0xbe8c1d8e, v67 :: v_dual_add_f32 v23, v33, v23
	s_delay_alu instid0(VALU_DEP_1) | instskip(SKIP_3) | instid1(VALU_DEP_3)
	v_add_f32_e32 v52, v52, v56
	v_fma_f32 v56, 0xbe8c1d8e, v66, -v67
	v_fmamk_f32 v67, v66, 0x3ee437d1, v51
	v_fma_f32 v51, 0x3ee437d1, v66, -v51
	v_add_f32_e32 v54, v56, v54
	s_delay_alu instid0(VALU_DEP_3) | instskip(NEXT) | instid1(VALU_DEP_3)
	v_dual_add_f32 v56, v67, v61 :: v_dual_fmamk_f32 v61, v66, 0x3f6eb680, v58
	v_add_f32_e32 v51, v51, v59
	v_dual_add_f32 v59, v68, v60 :: v_dual_sub_f32 v60, v75, v30
	s_delay_alu instid0(VALU_DEP_3) | instskip(SKIP_2) | instid1(VALU_DEP_4)
	v_dual_add_f32 v30, v75, v30 :: v_dual_add_f32 v61, v61, v63
	v_add_f32_e32 v63, v73, v29
	v_fma_f32 v58, 0x3f6eb680, v66, -v58
	v_mul_f32_e32 v64, 0xbf65296c, v60
	s_delay_alu instid0(VALU_DEP_4) | instskip(NEXT) | instid1(VALU_DEP_3)
	v_dual_mul_f32 v29, 0x3ee437d1, v30 :: v_dual_add_f32 v62, v62, v65
	v_dual_mul_f32 v33, 0xbf4c4adb, v60 :: v_dual_add_f32 v22, v58, v22
	s_delay_alu instid0(VALU_DEP_3) | instskip(NEXT) | instid1(VALU_DEP_3)
	v_fmamk_f32 v65, v63, 0x3ee437d1, v64
	v_fmamk_f32 v58, v25, 0x3f65296c, v29
	v_fma_f32 v64, 0x3ee437d1, v63, -v64
	v_fmac_f32_e32 v29, 0xbf65296c, v25
	s_delay_alu instid0(VALU_DEP_4) | instskip(NEXT) | instid1(VALU_DEP_4)
	v_add_f32_e32 v31, v65, v31
	v_dual_fmamk_f32 v65, v63, 0xbf1a4643, v33 :: v_dual_add_f32 v26, v58, v26
	v_mul_f32_e32 v58, 0xbf1a4643, v30
	v_add_f32_e32 v36, v64, v36
	v_fma_f32 v33, 0xbf1a4643, v63, -v33
	s_delay_alu instid0(VALU_DEP_4)
	v_add_f32_e32 v34, v65, v34
	v_mul_f32_e32 v65, 0xbf7ba420, v30
	v_fmamk_f32 v64, v25, 0x3f4c4adb, v58
	v_fmac_f32_e32 v58, 0xbf4c4adb, v25
	v_add_f32_e32 v29, v29, v37
	v_mul_f32_e32 v37, 0x3e3c28d5, v60
	v_add_f32_e32 v32, v33, v32
	s_delay_alu instid0(VALU_DEP_4) | instskip(SKIP_1) | instid1(VALU_DEP_4)
	v_dual_add_f32 v38, v64, v38 :: v_dual_add_f32 v33, v58, v35
	v_fmamk_f32 v35, v25, 0xbe3c28d5, v65
	v_fmamk_f32 v66, v63, 0xbf7ba420, v37
	v_fma_f32 v37, 0xbf7ba420, v63, -v37
	v_fmac_f32_e32 v65, 0x3e3c28d5, v25
	v_mul_f32_e32 v58, 0x3f763a35, v60
	v_dual_add_f32 v35, v35, v44 :: v_dual_mul_f32 v44, 0xbe8c1d8e, v30
	s_delay_alu instid0(VALU_DEP_4) | instskip(NEXT) | instid1(VALU_DEP_3)
	v_add_f32_e32 v37, v37, v39
	v_dual_add_f32 v39, v65, v42 :: v_dual_fmamk_f32 v64, v63, 0xbe8c1d8e, v58
	v_fma_f32 v58, 0xbe8c1d8e, v63, -v58
	s_delay_alu instid0(VALU_DEP_4) | instskip(SKIP_1) | instid1(VALU_DEP_4)
	v_fmamk_f32 v65, v25, 0xbf763a35, v44
	v_fmac_f32_e32 v44, 0x3f763a35, v25
	v_dual_add_f32 v40, v66, v40 :: v_dual_add_f32 v43, v64, v43
	s_delay_alu instid0(VALU_DEP_4) | instskip(NEXT) | instid1(VALU_DEP_4)
	v_add_f32_e32 v41, v58, v41
	v_add_f32_e32 v45, v65, v45
	s_delay_alu instid0(VALU_DEP_4) | instskip(NEXT) | instid1(VALU_DEP_1)
	v_dual_mul_f32 v65, 0x3f3d2fb0, v30 :: v_dual_add_f32 v44, v44, v47
	v_fmamk_f32 v58, v25, 0xbf2c7751, v65
	v_dual_fmac_f32 v65, 0x3f2c7751, v25 :: v_dual_mul_f32 v42, 0x3f2c7751, v60
	s_delay_alu instid0(VALU_DEP_2) | instskip(NEXT) | instid1(VALU_DEP_2)
	v_add_f32_e32 v48, v58, v48
	v_fmamk_f32 v64, v63, 0x3f3d2fb0, v42
	v_fma_f32 v42, 0x3f3d2fb0, v63, -v42
	s_delay_alu instid0(VALU_DEP_2) | instskip(SKIP_2) | instid1(VALU_DEP_4)
	v_add_f32_e32 v47, v64, v50
	v_mul_f32_e32 v64, 0x3f6eb680, v30
	v_mul_f32_e32 v50, 0xbeb8f4ab, v60
	v_add_f32_e32 v42, v42, v46
	v_add_f32_e32 v46, v65, v49
	v_mul_f32_e32 v58, 0xbf7ee86f, v60
	v_fmamk_f32 v49, v25, 0x3eb8f4ab, v64
	v_fmamk_f32 v66, v63, 0x3f6eb680, v50
	v_fma_f32 v50, 0x3f6eb680, v63, -v50
	v_fmac_f32_e32 v64, 0xbeb8f4ab, v25
	v_fmamk_f32 v65, v63, 0x3dbcf732, v58
	v_add_f32_e32 v49, v49, v53
	v_mul_f32_e32 v53, 0x3dbcf732, v30
	v_add_f32_e32 v50, v50, v54
	v_dual_add_f32 v54, v64, v55 :: v_dual_mul_f32 v55, 0xbf06c442, v60
	v_fma_f32 v58, 0x3dbcf732, v63, -v58
	s_delay_alu instid0(VALU_DEP_4) | instskip(SKIP_1) | instid1(VALU_DEP_3)
	v_fmamk_f32 v60, v25, 0x3f7ee86f, v53
	v_fmac_f32_e32 v53, 0xbf7ee86f, v25
	v_dual_add_f32 v51, v58, v51 :: v_dual_mul_f32 v30, 0xbf59a7d5, v30
	s_delay_alu instid0(VALU_DEP_2)
	v_add_f32_e32 v53, v53, v59
	v_sub_f32_e32 v59, v20, v28
	v_add_f32_e32 v20, v20, v28
	v_add_f32_e32 v28, v19, v27
	v_dual_fmamk_f32 v64, v63, 0xbf59a7d5, v55 :: v_dual_add_f32 v57, v60, v57
	v_dual_fmamk_f32 v60, v25, 0x3f06c442, v30 :: v_dual_sub_f32 v19, v19, v27
	v_fma_f32 v55, 0xbf59a7d5, v63, -v55
	s_delay_alu instid0(VALU_DEP_3) | instskip(NEXT) | instid1(VALU_DEP_3)
	v_dual_add_f32 v58, v64, v61 :: v_dual_mul_f32 v61, 0xbf7ee86f, v59
	v_dual_add_f32 v27, v60, v62 :: v_dual_fmac_f32 v30, 0xbf06c442, v25
	s_delay_alu instid0(VALU_DEP_3) | instskip(NEXT) | instid1(VALU_DEP_3)
	v_dual_mul_f32 v25, 0x3dbcf732, v20 :: v_dual_add_f32 v22, v55, v22
	v_fmamk_f32 v60, v28, 0x3dbcf732, v61
	v_mul_f32_e32 v55, 0xbe3c28d5, v59
	s_delay_alu instid0(VALU_DEP_4) | instskip(NEXT) | instid1(VALU_DEP_3)
	v_add_f32_e32 v23, v30, v23
	v_dual_add_f32 v31, v60, v31 :: v_dual_fmamk_f32 v30, v19, 0x3f7ee86f, v25
	v_fmac_f32_e32 v25, 0xbf7ee86f, v19
	v_fma_f32 v60, 0x3dbcf732, v28, -v61
	s_delay_alu instid0(VALU_DEP_3) | instskip(NEXT) | instid1(VALU_DEP_3)
	v_dual_mul_f32 v61, 0xbf7ba420, v20 :: v_dual_add_f32 v26, v30, v26
	v_dual_add_f32 v25, v25, v29 :: v_dual_fmamk_f32 v30, v28, 0xbf7ba420, v55
	s_delay_alu instid0(VALU_DEP_3) | instskip(SKIP_1) | instid1(VALU_DEP_3)
	v_dual_mul_f32 v29, 0x3f763a35, v59 :: v_dual_add_f32 v36, v60, v36
	v_fma_f32 v55, 0xbf7ba420, v28, -v55
	v_add_f32_e32 v30, v30, v34
	v_fmamk_f32 v34, v19, 0x3e3c28d5, v61
	s_delay_alu instid0(VALU_DEP_3) | instskip(NEXT) | instid1(VALU_DEP_2)
	v_dual_fmac_f32 v61, 0xbe3c28d5, v19 :: v_dual_add_f32 v32, v55, v32
	v_dual_mul_f32 v55, 0x3eb8f4ab, v59 :: v_dual_add_f32 v34, v34, v38
	s_delay_alu instid0(VALU_DEP_2) | instskip(SKIP_2) | instid1(VALU_DEP_3)
	v_dual_fmamk_f32 v60, v28, 0xbe8c1d8e, v29 :: v_dual_add_f32 v33, v61, v33
	v_mul_f32_e32 v62, 0xbe8c1d8e, v20
	v_fma_f32 v29, 0xbe8c1d8e, v28, -v29
	v_dual_mul_f32 v61, 0xbf65296c, v59 :: v_dual_add_f32 v38, v60, v40
	s_delay_alu instid0(VALU_DEP_2) | instskip(NEXT) | instid1(VALU_DEP_4)
	v_dual_mul_f32 v60, 0x3f6eb680, v20 :: v_dual_add_f32 v29, v29, v37
	v_fmamk_f32 v40, v19, 0xbf763a35, v62
	v_fmac_f32_e32 v62, 0x3f763a35, v19
	s_delay_alu instid0(VALU_DEP_2) | instskip(NEXT) | instid1(VALU_DEP_2)
	v_add_f32_e32 v35, v40, v35
	v_dual_fmamk_f32 v40, v28, 0x3f6eb680, v55 :: v_dual_add_f32 v37, v62, v39
	s_delay_alu instid0(VALU_DEP_1) | instskip(SKIP_1) | instid1(VALU_DEP_2)
	v_dual_fmamk_f32 v39, v19, 0xbeb8f4ab, v60 :: v_dual_add_f32 v40, v40, v43
	v_fma_f32 v43, 0x3f6eb680, v28, -v55
	v_dual_fmac_f32 v60, 0x3eb8f4ab, v19 :: v_dual_add_f32 v39, v39, v45
	v_fmamk_f32 v45, v28, 0x3ee437d1, v61
	v_mul_f32_e32 v55, 0x3ee437d1, v20
	s_delay_alu instid0(VALU_DEP_4) | instskip(NEXT) | instid1(VALU_DEP_4)
	v_add_f32_e32 v41, v43, v41
	v_add_f32_e32 v43, v60, v44
	;; [unrolled: 1-line block ×3, first 2 shown]
	v_fma_f32 v60, 0x3ee437d1, v28, -v61
	v_add_f32_e32 v56, v65, v56
	v_add_f32_e32 v45, v45, v47
	v_fmamk_f32 v47, v19, 0x3f65296c, v55
	s_delay_alu instid0(VALU_DEP_4) | instskip(NEXT) | instid1(VALU_DEP_2)
	v_dual_fmac_f32 v55, 0xbf65296c, v19 :: v_dual_add_f32 v42, v60, v42
	v_dual_mul_f32 v44, 0xbf06c442, v59 :: v_dual_add_f32 v47, v47, v48
	s_delay_alu instid0(VALU_DEP_2) | instskip(NEXT) | instid1(VALU_DEP_2)
	v_dual_add_f32 v46, v55, v46 :: v_dual_mul_f32 v55, 0x3f4c4adb, v59
	v_fmamk_f32 v61, v28, 0xbf59a7d5, v44
	v_fma_f32 v44, 0xbf59a7d5, v28, -v44
	v_mul_f32_e32 v60, 0xbf1a4643, v20
	s_delay_alu instid0(VALU_DEP_3) | instskip(NEXT) | instid1(VALU_DEP_3)
	v_dual_mul_f32 v59, 0x3f2c7751, v59 :: v_dual_add_f32 v48, v61, v52
	v_add_f32_e32 v44, v44, v50
	s_delay_alu instid0(VALU_DEP_3) | instskip(SKIP_1) | instid1(VALU_DEP_1)
	v_fmamk_f32 v50, v19, 0xbf4c4adb, v60
	v_fmac_f32_e32 v60, 0x3f4c4adb, v19
	v_dual_add_f32 v53, v60, v53 :: v_dual_mul_f32 v62, 0xbf59a7d5, v20
	v_mul_f32_e32 v20, 0x3f3d2fb0, v20
	s_delay_alu instid0(VALU_DEP_2) | instskip(NEXT) | instid1(VALU_DEP_1)
	v_fmamk_f32 v52, v19, 0x3f06c442, v62
	v_dual_fmac_f32 v62, 0xbf06c442, v19 :: v_dual_add_f32 v49, v52, v49
	v_fmamk_f32 v52, v28, 0xbf1a4643, v55
	v_fma_f32 v55, 0xbf1a4643, v28, -v55
	s_delay_alu instid0(VALU_DEP_1) | instskip(SKIP_4) | instid1(VALU_DEP_3)
	v_add_f32_e32 v51, v55, v51
	v_dual_sub_f32 v55, v16, v18 :: v_dual_add_f32 v50, v50, v57
	v_dual_fmamk_f32 v57, v19, 0xbf2c7751, v20 :: v_dual_add_f32 v16, v16, v18
	v_fma_f32 v18, 0x3f3d2fb0, v28, -v59
	v_fmac_f32_e32 v20, 0x3f2c7751, v19
	v_add_f32_e32 v27, v57, v27
	s_delay_alu instid0(VALU_DEP_4) | instskip(SKIP_3) | instid1(VALU_DEP_2)
	v_mul_f32_e32 v57, 0x3ee437d1, v16
	v_add_f32_e32 v52, v52, v56
	v_fmamk_f32 v56, v28, 0x3f3d2fb0, v59
	v_dual_mul_f32 v19, 0xbe8c1d8e, v16 :: v_dual_add_f32 v20, v20, v23
	v_dual_mul_f32 v23, 0x3f06c442, v55 :: v_dual_add_f32 v56, v56, v58
	v_add_f32_e32 v58, v15, v17
	v_dual_sub_f32 v15, v15, v17 :: v_dual_add_f32 v18, v18, v22
	s_delay_alu instid0(VALU_DEP_1) | instskip(NEXT) | instid1(VALU_DEP_1)
	v_fmamk_f32 v22, v15, 0x3f763a35, v19
	v_dual_fmac_f32 v19, 0xbf763a35, v15 :: v_dual_add_f32 v22, v22, v26
	s_delay_alu instid0(VALU_DEP_4) | instskip(SKIP_1) | instid1(VALU_DEP_2)
	v_fmamk_f32 v26, v58, 0xbf59a7d5, v23
	v_fma_f32 v23, 0xbf59a7d5, v58, -v23
	v_dual_add_f32 v19, v19, v25 :: v_dual_add_f32 v26, v26, v30
	s_delay_alu instid0(VALU_DEP_2) | instskip(SKIP_1) | instid1(VALU_DEP_2)
	v_dual_mul_f32 v60, 0xbf763a35, v55 :: v_dual_add_f32 v23, v23, v32
	v_mul_f32_e32 v32, 0xbf65296c, v55
	v_fmamk_f32 v17, v58, 0xbe8c1d8e, v60
	v_fma_f32 v28, 0xbe8c1d8e, v58, -v60
	s_delay_alu instid0(VALU_DEP_2) | instskip(SKIP_1) | instid1(VALU_DEP_3)
	v_add_f32_e32 v17, v17, v31
	v_mul_f32_e32 v31, 0xbf59a7d5, v16
	v_add_f32_e32 v28, v28, v36
	v_mul_f32_e32 v36, 0x3f2c7751, v55
	s_delay_alu instid0(VALU_DEP_3) | instskip(SKIP_1) | instid1(VALU_DEP_3)
	v_fmamk_f32 v25, v15, 0xbf06c442, v31
	v_fmac_f32_e32 v31, 0x3f06c442, v15
	v_fmamk_f32 v30, v58, 0x3f3d2fb0, v36
	v_fma_f32 v36, 0x3f3d2fb0, v58, -v36
	s_delay_alu instid0(VALU_DEP_4) | instskip(NEXT) | instid1(VALU_DEP_3)
	v_dual_add_f32 v25, v25, v34 :: v_dual_mul_f32 v34, 0x3f3d2fb0, v16
	v_add_f32_e32 v30, v30, v38
	v_fmamk_f32 v38, v58, 0x3ee437d1, v32
	v_fma_f32 v32, 0x3ee437d1, v58, -v32
	v_add_f32_e32 v31, v31, v33
	v_fmamk_f32 v33, v15, 0xbf2c7751, v34
	v_dual_add_f32 v29, v36, v29 :: v_dual_fmamk_f32 v36, v15, 0x3f65296c, v57
	s_delay_alu instid0(VALU_DEP_4) | instskip(SKIP_4) | instid1(VALU_DEP_4)
	v_add_f32_e32 v32, v32, v41
	v_fmac_f32_e32 v34, 0x3f2c7751, v15
	v_fmac_f32_e32 v57, 0xbf65296c, v15
	v_add_f32_e32 v33, v33, v35
	v_dual_add_f32 v35, v38, v40 :: v_dual_add_f32 v36, v36, v39
	v_dual_add_f32 v34, v34, v37 :: v_dual_mul_f32 v37, 0xbe3c28d5, v55
	s_delay_alu instid0(VALU_DEP_4) | instskip(SKIP_1) | instid1(VALU_DEP_3)
	v_add_f32_e32 v40, v57, v43
	v_mul_f32_e32 v43, 0x3f7ee86f, v55
	v_fmamk_f32 v39, v58, 0xbf7ba420, v37
	s_delay_alu instid0(VALU_DEP_1) | instskip(NEXT) | instid1(VALU_DEP_3)
	v_add_f32_e32 v39, v39, v45
	v_fmamk_f32 v45, v58, 0x3dbcf732, v43
	v_fma_f32 v43, 0x3dbcf732, v58, -v43
	v_mul_f32_e32 v57, 0x3f6eb680, v16
	s_delay_alu instid0(VALU_DEP_3) | instskip(NEXT) | instid1(VALU_DEP_3)
	v_add_f32_e32 v45, v45, v48
	v_add_f32_e32 v43, v43, v44
	v_mul_f32_e32 v38, 0xbf7ba420, v16
	s_delay_alu instid0(VALU_DEP_1) | instskip(SKIP_1) | instid1(VALU_DEP_2)
	v_dual_add_f32 v54, v62, v54 :: v_dual_fmamk_f32 v41, v15, 0x3e3c28d5, v38
	v_fmac_f32_e32 v38, 0xbe3c28d5, v15
	v_add_f32_e32 v41, v41, v47
	v_mul_f32_e32 v47, 0x3dbcf732, v16
	v_fma_f32 v37, 0xbf7ba420, v58, -v37
	s_delay_alu instid0(VALU_DEP_4) | instskip(NEXT) | instid1(VALU_DEP_2)
	v_add_f32_e32 v38, v38, v46
	v_dual_mul_f32 v16, 0xbf1a4643, v16 :: v_dual_add_f32 v37, v37, v42
	v_mul_f32_e32 v42, 0xbeb8f4ab, v55
	s_delay_alu instid0(VALU_DEP_1) | instskip(SKIP_1) | instid1(VALU_DEP_1)
	v_fmamk_f32 v48, v58, 0x3f6eb680, v42
	v_fma_f32 v42, 0x3f6eb680, v58, -v42
	v_add_f32_e32 v42, v42, v51
	v_fmamk_f32 v46, v15, 0xbf7ee86f, v47
	v_fmac_f32_e32 v47, 0x3f7ee86f, v15
	s_delay_alu instid0(VALU_DEP_1) | instskip(SKIP_2) | instid1(VALU_DEP_2)
	v_dual_add_f32 v44, v47, v54 :: v_dual_add_f32 v47, v48, v52
	v_fmamk_f32 v52, v15, 0x3f4c4adb, v16
	v_fmac_f32_e32 v16, 0xbf4c4adb, v15
	v_dual_add_f32 v27, v52, v27 :: v_dual_fmamk_f32 v48, v15, 0x3eb8f4ab, v57
	v_fmac_f32_e32 v57, 0xbeb8f4ab, v15
	s_delay_alu instid0(VALU_DEP_1) | instskip(SKIP_4) | instid1(VALU_DEP_4)
	v_add_f32_e32 v51, v57, v53
	v_sub_f32_e32 v53, v12, v14
	v_add_f32_e32 v12, v12, v14
	v_add_f32_e32 v52, v11, v13
	v_dual_add_f32 v46, v46, v49 :: v_dual_mul_f32 v49, 0xbf4c4adb, v55
	v_mul_f32_e32 v14, 0xbf4c4adb, v53
	v_dual_add_f32 v48, v48, v50 :: v_dual_sub_f32 v11, v11, v13
	v_mul_f32_e32 v13, 0xbf1a4643, v12
	v_add_f32_e32 v16, v16, v20
	s_delay_alu instid0(VALU_DEP_4) | instskip(SKIP_1) | instid1(VALU_DEP_2)
	v_fmamk_f32 v15, v52, 0xbf1a4643, v14
	v_fma_f32 v14, 0xbf1a4643, v52, -v14
	v_dual_add_f32 v15, v15, v17 :: v_dual_fmamk_f32 v50, v58, 0xbf1a4643, v49
	v_fma_f32 v49, 0xbf1a4643, v58, -v49
	s_delay_alu instid0(VALU_DEP_3) | instskip(NEXT) | instid1(VALU_DEP_2)
	v_add_f32_e32 v14, v14, v28
	v_dual_add_f32 v18, v49, v18 :: v_dual_fmamk_f32 v49, v11, 0x3f4c4adb, v13
	s_delay_alu instid0(VALU_DEP_1) | instskip(NEXT) | instid1(VALU_DEP_1)
	v_dual_fmac_f32 v13, 0xbf4c4adb, v11 :: v_dual_add_f32 v22, v49, v22
	v_add_f32_e32 v13, v13, v19
	v_mul_f32_e32 v19, 0xbeb8f4ab, v53
	v_mul_f32_e32 v49, 0xbe8c1d8e, v12
	s_delay_alu instid0(VALU_DEP_2) | instskip(SKIP_1) | instid1(VALU_DEP_2)
	v_fmamk_f32 v54, v52, 0x3f6eb680, v19
	v_fma_f32 v19, 0x3f6eb680, v52, -v19
	v_add_f32_e32 v30, v54, v30
	v_mul_f32_e32 v20, 0x3f763a35, v53
	s_delay_alu instid0(VALU_DEP_3) | instskip(SKIP_1) | instid1(VALU_DEP_3)
	v_add_f32_e32 v19, v19, v29
	v_mul_f32_e32 v29, 0x3f7ee86f, v53
	v_fmamk_f32 v17, v52, 0xbe8c1d8e, v20
	v_fma_f32 v20, 0xbe8c1d8e, v52, -v20
	s_delay_alu instid0(VALU_DEP_2) | instskip(SKIP_1) | instid1(VALU_DEP_2)
	v_dual_add_f32 v17, v17, v26 :: v_dual_fmamk_f32 v26, v11, 0xbf763a35, v49
	v_fmac_f32_e32 v49, 0x3f763a35, v11
	v_dual_add_f32 v20, v20, v23 :: v_dual_add_f32 v25, v26, v25
	s_delay_alu instid0(VALU_DEP_2) | instskip(SKIP_1) | instid1(VALU_DEP_1)
	v_add_f32_e32 v23, v49, v31
	v_mul_f32_e32 v31, 0xbf06c442, v53
	v_fmamk_f32 v49, v52, 0xbf59a7d5, v31
	v_fma_f32 v31, 0xbf59a7d5, v52, -v31
	s_delay_alu instid0(VALU_DEP_2) | instskip(SKIP_1) | instid1(VALU_DEP_3)
	v_dual_add_f32 v35, v49, v35 :: v_dual_mul_f32 v28, 0x3f6eb680, v12
	v_fmamk_f32 v49, v52, 0x3dbcf732, v29
	v_add_f32_e32 v31, v31, v32
	s_delay_alu instid0(VALU_DEP_3) | instskip(SKIP_1) | instid1(VALU_DEP_2)
	v_fmamk_f32 v26, v11, 0x3eb8f4ab, v28
	v_fmac_f32_e32 v28, 0xbeb8f4ab, v11
	v_dual_add_f32 v26, v26, v33 :: v_dual_mul_f32 v33, 0xbf59a7d5, v12
	v_add_f32_e32 v50, v50, v56
	s_delay_alu instid0(VALU_DEP_3) | instskip(NEXT) | instid1(VALU_DEP_3)
	v_add_f32_e32 v28, v28, v34
	v_fmamk_f32 v34, v11, 0x3f06c442, v33
	s_delay_alu instid0(VALU_DEP_1) | instskip(NEXT) | instid1(VALU_DEP_1)
	v_dual_fmac_f32 v33, 0xbf06c442, v11 :: v_dual_add_f32 v34, v34, v36
	v_add_f32_e32 v32, v33, v40
	v_add_f32_e32 v33, v49, v39
	v_mul_f32_e32 v39, 0xbf2c7751, v53
	v_mul_f32_e32 v49, 0x3f3d2fb0, v12
	v_fma_f32 v29, 0x3dbcf732, v52, -v29
	s_delay_alu instid0(VALU_DEP_1) | instskip(NEXT) | instid1(VALU_DEP_3)
	v_add_f32_e32 v29, v29, v37
	v_fmamk_f32 v37, v11, 0x3f2c7751, v49
	v_fmac_f32_e32 v49, 0xbf2c7751, v11
	s_delay_alu instid0(VALU_DEP_2) | instskip(NEXT) | instid1(VALU_DEP_1)
	v_dual_add_f32 v37, v37, v46 :: v_dual_mul_f32 v36, 0x3dbcf732, v12
	v_fmamk_f32 v40, v11, 0xbf7ee86f, v36
	v_fmac_f32_e32 v36, 0x3f7ee86f, v11
	s_delay_alu instid0(VALU_DEP_2) | instskip(NEXT) | instid1(VALU_DEP_2)
	v_add_f32_e32 v40, v40, v41
	v_add_f32_e32 v36, v36, v38
	v_fmamk_f32 v54, v52, 0x3f3d2fb0, v39
	v_mul_f32_e32 v41, 0xbe3c28d5, v53
	v_fma_f32 v39, 0x3f3d2fb0, v52, -v39
	s_delay_alu instid0(VALU_DEP_3) | instskip(NEXT) | instid1(VALU_DEP_2)
	v_dual_add_f32 v38, v54, v45 :: v_dual_mul_f32 v45, 0xbf7ba420, v12
	v_dual_fmamk_f32 v46, v52, 0xbf7ba420, v41 :: v_dual_add_f32 v39, v39, v43
	v_dual_add_f32 v43, v49, v44 :: v_dual_mul_f32 v44, 0x3f65296c, v53
	s_delay_alu instid0(VALU_DEP_2) | instskip(SKIP_2) | instid1(VALU_DEP_4)
	v_dual_fmamk_f32 v49, v11, 0x3e3c28d5, v45 :: v_dual_add_f32 v46, v46, v47
	v_fma_f32 v41, 0xbf7ba420, v52, -v41
	v_fmac_f32_e32 v45, 0xbe3c28d5, v11
	v_fmamk_f32 v47, v52, 0x3ee437d1, v44
	v_fma_f32 v44, 0x3ee437d1, v52, -v44
	s_delay_alu instid0(VALU_DEP_4) | instskip(NEXT) | instid1(VALU_DEP_4)
	v_add_f32_e32 v41, v41, v42
	v_add_f32_e32 v42, v45, v51
	s_delay_alu instid0(VALU_DEP_4) | instskip(SKIP_3) | instid1(VALU_DEP_4)
	v_dual_mul_f32 v12, 0x3ee437d1, v12 :: v_dual_add_f32 v45, v47, v50
	v_sub_f32_e32 v47, v8, v10
	v_add_f32_e32 v8, v8, v10
	v_add_f32_e32 v10, v7, v9
	v_dual_add_f32 v48, v49, v48 :: v_dual_fmamk_f32 v49, v11, 0xbf65296c, v12
	s_delay_alu instid0(VALU_DEP_4) | instskip(SKIP_2) | instid1(VALU_DEP_4)
	v_dual_mul_f32 v50, 0xbf06c442, v47 :: v_dual_sub_f32 v7, v7, v9
	v_add_f32_e32 v18, v44, v18
	v_fmac_f32_e32 v12, 0x3f65296c, v11
	v_add_f32_e32 v11, v49, v27
	s_delay_alu instid0(VALU_DEP_4) | instskip(SKIP_2) | instid1(VALU_DEP_3)
	v_fmamk_f32 v27, v10, 0xbf59a7d5, v50
	v_mul_f32_e32 v9, 0xbf59a7d5, v8
	v_mul_f32_e32 v49, 0x3ee437d1, v8
	v_dual_add_f32 v12, v12, v16 :: v_dual_add_f32 v15, v27, v15
	v_fma_f32 v27, 0xbf59a7d5, v10, -v50
	s_delay_alu instid0(VALU_DEP_4) | instskip(NEXT) | instid1(VALU_DEP_2)
	v_fmamk_f32 v16, v7, 0x3f06c442, v9
	v_dual_fmac_f32 v9, 0xbf06c442, v7 :: v_dual_add_f32 v14, v27, v14
	v_mul_f32_e32 v44, 0x3f65296c, v47
	s_delay_alu instid0(VALU_DEP_2) | instskip(SKIP_1) | instid1(VALU_DEP_3)
	v_dual_add_f32 v16, v16, v22 :: v_dual_add_f32 v9, v9, v13
	v_mul_f32_e32 v13, 0xbf7ee86f, v47
	v_fmamk_f32 v22, v10, 0x3ee437d1, v44
	v_fma_f32 v27, 0x3ee437d1, v10, -v44
	s_delay_alu instid0(VALU_DEP_2) | instskip(SKIP_4) | instid1(VALU_DEP_4)
	v_dual_add_f32 v17, v22, v17 :: v_dual_fmamk_f32 v22, v7, 0xbf65296c, v49
	v_fmac_f32_e32 v49, 0x3f65296c, v7
	v_fmamk_f32 v44, v10, 0x3dbcf732, v13
	v_fma_f32 v13, 0x3dbcf732, v10, -v13
	v_add_f32_e32 v20, v27, v20
	v_dual_add_f32 v22, v22, v25 :: v_dual_add_f32 v23, v49, v23
	v_mul_f32_e32 v49, 0xbeb8f4ab, v47
	s_delay_alu instid0(VALU_DEP_4) | instskip(SKIP_1) | instid1(VALU_DEP_2)
	v_dual_add_f32 v13, v13, v19 :: v_dual_mul_f32 v50, 0x3dbcf732, v8
	v_dual_add_f32 v25, v44, v30 :: v_dual_mul_f32 v30, 0x3f4c4adb, v47
	v_fmamk_f32 v27, v7, 0x3f7ee86f, v50
	v_fmac_f32_e32 v50, 0xbf7ee86f, v7
	s_delay_alu instid0(VALU_DEP_2) | instskip(NEXT) | instid1(VALU_DEP_2)
	v_dual_add_f32 v26, v27, v26 :: v_dual_fmamk_f32 v27, v10, 0xbf1a4643, v30
	v_add_f32_e32 v19, v50, v28
	s_delay_alu instid0(VALU_DEP_2) | instskip(SKIP_2) | instid1(VALU_DEP_2)
	v_dual_mul_f32 v50, 0xbf7ba420, v8 :: v_dual_add_f32 v27, v27, v35
	v_mul_f32_e32 v44, 0xbf1a4643, v8
	v_mul_f32_e32 v35, 0x3f6eb680, v8
	v_fmamk_f32 v28, v7, 0xbf4c4adb, v44
	v_fmac_f32_e32 v44, 0x3f4c4adb, v7
	s_delay_alu instid0(VALU_DEP_2) | instskip(SKIP_1) | instid1(VALU_DEP_1)
	v_add_f32_e32 v28, v28, v34
	v_fmamk_f32 v34, v10, 0x3f6eb680, v49
	v_dual_add_f32 v33, v34, v33 :: v_dual_fmamk_f32 v34, v7, 0x3eb8f4ab, v35
	v_fmac_f32_e32 v35, 0xbeb8f4ab, v7
	v_fma_f32 v30, 0xbf1a4643, v10, -v30
	s_delay_alu instid0(VALU_DEP_3) | instskip(NEXT) | instid1(VALU_DEP_2)
	v_add_f32_e32 v34, v34, v40
	v_dual_add_f32 v35, v35, v36 :: v_dual_add_f32 v30, v30, v31
	v_dual_add_f32 v31, v44, v32 :: v_dual_mul_f32 v32, 0xbe3c28d5, v47
	v_fma_f32 v44, 0x3f6eb680, v10, -v49
	v_mul_f32_e32 v40, 0x3f2c7751, v47
	v_mul_f32_e32 v47, 0xbf763a35, v47
	s_delay_alu instid0(VALU_DEP_4) | instskip(NEXT) | instid1(VALU_DEP_4)
	v_fmamk_f32 v49, v10, 0xbf7ba420, v32
	v_add_f32_e32 v29, v44, v29
	v_fma_f32 v32, 0xbf7ba420, v10, -v32
	v_mul_f32_e32 v44, 0x3f3d2fb0, v8
	v_mul_f32_e32 v8, 0xbe8c1d8e, v8
	v_add_f32_e32 v36, v49, v38
	v_fmamk_f32 v38, v7, 0x3e3c28d5, v50
	s_delay_alu instid0(VALU_DEP_1) | instskip(SKIP_2) | instid1(VALU_DEP_1)
	v_dual_add_f32 v32, v32, v39 :: v_dual_add_f32 v37, v38, v37
	v_fmamk_f32 v38, v10, 0x3f3d2fb0, v40
	v_fma_f32 v40, 0x3f3d2fb0, v10, -v40
	v_add_f32_e32 v40, v40, v41
	v_fmac_f32_e32 v50, 0xbe3c28d5, v7
	s_delay_alu instid0(VALU_DEP_1) | instskip(SKIP_1) | instid1(VALU_DEP_1)
	v_add_f32_e32 v39, v50, v43
	v_fmamk_f32 v43, v7, 0xbf2c7751, v44
	v_dual_fmac_f32 v44, 0x3f2c7751, v7 :: v_dual_add_f32 v43, v43, v48
	v_add_f32_e32 v48, v5, v6
	v_add_f32_e32 v38, v38, v46
	s_delay_alu instid0(VALU_DEP_3) | instskip(NEXT) | instid1(VALU_DEP_1)
	v_dual_fmamk_f32 v46, v10, 0xbe8c1d8e, v47 :: v_dual_add_f32 v41, v44, v42
	v_dual_add_f32 v44, v46, v45 :: v_dual_fmamk_f32 v45, v7, 0x3f763a35, v8
	v_add_f32_e32 v46, v3, v4
	v_sub_f32_e32 v42, v5, v6
	v_fmac_f32_e32 v8, 0xbf763a35, v7
	v_fma_f32 v6, 0xbe8c1d8e, v10, -v47
	v_sub_f32_e32 v47, v3, v4
	v_mul_f32_e32 v7, 0xbf7ba420, v48
	s_delay_alu instid0(VALU_DEP_4) | instskip(SKIP_1) | instid1(VALU_DEP_3)
	v_dual_mul_f32 v5, 0xbe3c28d5, v42 :: v_dual_add_f32 v50, v8, v12
	v_dual_mul_f32 v8, 0x3eb8f4ab, v42 :: v_dual_add_f32 v45, v45, v11
	v_fmamk_f32 v4, v47, 0x3e3c28d5, v7
	s_delay_alu instid0(VALU_DEP_3)
	v_fmamk_f32 v3, v46, 0xbf7ba420, v5
	v_fma_f32 v5, 0xbf7ba420, v46, -v5
	v_fmac_f32_e32 v7, 0xbe3c28d5, v47
	v_dual_mul_f32 v10, 0x3f6eb680, v48 :: v_dual_fmamk_f32 v11, v46, 0x3f6eb680, v8
	v_mul_f32_e32 v12, 0xbf06c442, v42
	v_add_f32_e32 v49, v6, v18
	v_add_f32_e32 v3, v3, v15
	v_dual_add_f32 v5, v5, v14 :: v_dual_add_f32 v6, v7, v9
	v_fmamk_f32 v9, v47, 0xbeb8f4ab, v10
	v_add_f32_e32 v7, v11, v17
	v_fma_f32 v11, 0x3f6eb680, v46, -v8
	v_dual_fmamk_f32 v14, v46, 0xbf59a7d5, v12 :: v_dual_mul_f32 v15, 0xbf59a7d5, v48
	v_add_f32_e32 v4, v4, v16
	s_delay_alu instid0(VALU_DEP_3) | instskip(NEXT) | instid1(VALU_DEP_3)
	v_dual_add_f32 v8, v9, v22 :: v_dual_add_f32 v9, v11, v20
	v_dual_add_f32 v11, v14, v25 :: v_dual_mul_f32 v16, 0x3f2c7751, v42
	s_delay_alu instid0(VALU_DEP_4)
	v_fmamk_f32 v14, v47, 0x3f06c442, v15
	v_fmac_f32_e32 v10, 0x3eb8f4ab, v47
	v_fma_f32 v17, 0xbf59a7d5, v46, -v12
	v_fmac_f32_e32 v15, 0xbf06c442, v47
	v_mul_f32_e32 v18, 0x3f3d2fb0, v48
	v_fmamk_f32 v20, v46, 0x3f3d2fb0, v16
	v_add_f32_e32 v12, v14, v26
	v_mul_f32_e32 v26, 0x3f65296c, v42
	v_dual_add_f32 v10, v10, v23 :: v_dual_add_f32 v13, v17, v13
	v_add_f32_e32 v14, v15, v19
	v_fmamk_f32 v17, v47, 0xbf2c7751, v18
	v_add_f32_e32 v15, v20, v27
	v_mul_f32_e32 v23, 0xbf1a4643, v48
	v_fmamk_f32 v27, v46, 0x3ee437d1, v26
	v_mul_f32_e32 v20, 0xbf4c4adb, v42
	v_fma_f32 v19, 0x3f3d2fb0, v46, -v16
	s_delay_alu instid0(VALU_DEP_4) | instskip(SKIP_1) | instid1(VALU_DEP_3)
	v_dual_add_f32 v16, v17, v28 :: v_dual_fmamk_f32 v25, v47, 0x3f4c4adb, v23
	v_mul_f32_e32 v28, 0x3ee437d1, v48
	v_dual_fmamk_f32 v22, v46, 0xbf1a4643, v20 :: v_dual_add_f32 v17, v19, v30
	v_fmac_f32_e32 v18, 0x3f2c7751, v47
	v_fmac_f32_e32 v23, 0xbf4c4adb, v47
	s_delay_alu instid0(VALU_DEP_3) | instskip(SKIP_3) | instid1(VALU_DEP_3)
	v_add_f32_e32 v19, v22, v33
	v_fma_f32 v22, 0xbf1a4643, v46, -v20
	v_dual_add_f32 v20, v25, v34 :: v_dual_add_f32 v25, v27, v36
	v_fmamk_f32 v27, v47, 0xbf65296c, v28
	v_dual_mul_f32 v33, 0xbe8c1d8e, v48 :: v_dual_add_f32 v22, v22, v29
	v_fmac_f32_e32 v28, 0x3f65296c, v47
	v_dual_add_f32 v18, v18, v31 :: v_dual_mul_f32 v31, 0xbf763a35, v42
	s_delay_alu instid0(VALU_DEP_3)
	v_fmamk_f32 v34, v47, 0x3f763a35, v33
	v_fmac_f32_e32 v33, 0xbf763a35, v47
	v_fma_f32 v29, 0x3ee437d1, v46, -v26
	v_add_f32_e32 v26, v27, v37
	v_add_f32_e32 v28, v28, v39
	v_dual_add_f32 v23, v23, v35 :: v_dual_fmamk_f32 v30, v46, 0xbe8c1d8e, v31
	s_delay_alu instid0(VALU_DEP_4) | instskip(SKIP_2) | instid1(VALU_DEP_4)
	v_add_f32_e32 v27, v29, v32
	v_mul_u32_u24_e32 v32, 0x2493, v0
	v_fma_f32 v31, 0xbe8c1d8e, v46, -v31
	v_dual_mul_f32 v36, 0x3dbcf732, v48 :: v_dual_add_f32 v29, v30, v38
	v_add_f32_e32 v30, v34, v43
	s_delay_alu instid0(VALU_DEP_4) | instskip(NEXT) | instid1(VALU_DEP_4)
	v_lshrrev_b32_e32 v39, 16, v32
	v_dual_mul_f32 v34, 0x3f7ee86f, v42 :: v_dual_add_f32 v31, v31, v40
	s_delay_alu instid0(VALU_DEP_4) | instskip(NEXT) | instid1(VALU_DEP_3)
	v_dual_add_f32 v32, v33, v41 :: v_dual_fmamk_f32 v37, v47, 0xbf7ee86f, v36
	v_mul_lo_u16 v35, v39, 7
	s_delay_alu instid0(VALU_DEP_3)
	v_fma_f32 v38, 0x3dbcf732, v46, -v34
	v_fmamk_f32 v33, v46, 0x3dbcf732, v34
	v_fmac_f32_e32 v36, 0x3f7ee86f, v47
	v_add_f32_e32 v34, v37, v45
	v_sub_nc_u16 v40, v0, v35
	v_add_f32_e32 v35, v38, v49
	s_delay_alu instid0(VALU_DEP_4)
	v_dual_add_f32 v33, v33, v44 :: v_dual_add_f32 v36, v36, v50
	ds_store_2addr_b64 v24, v[1:2], v[3:4] offset1:17
	ds_store_2addr_b64 v24, v[7:8], v[11:12] offset0:34 offset1:51
	ds_store_2addr_b64 v24, v[15:16], v[19:20] offset0:68 offset1:85
	;; [unrolled: 1-line block ×4, first 2 shown]
	v_and_b32_e32 v41, 0xffff, v40
	v_mul_lo_u16 v2, 0x122, v40
	v_lshlrev_b32_e32 v8, 3, v39
	v_mul_lo_u32 v20, s12, v39
	ds_store_2addr_b64 v24, v[31:32], v[27:28] offset0:170 offset1:187
	v_mad_co_u64_u32 v[37:38], null, s0, v41, 0
	v_and_b32_e32 v3, 0xffff, v2
	ds_store_2addr_b64 v24, v[22:23], v[17:18] offset0:204 offset1:221
	ds_store_2addr_b64 v24, v[13:14], v[9:10] offset0:238 offset1:255
	ds_store_b64 v24, v[5:6] offset:2176
	global_wb scope:SCOPE_SE
	s_wait_dscnt 0x0
	s_barrier_signal -1
	v_lshlrev_b32_e32 v3, 3, v3
	v_mov_b32_e32 v1, v38
	s_barrier_wait -1
	global_inv scope:SCOPE_SE
	v_lshlrev_b64_e32 v[6:7], 3, v[20:21]
	s_mul_i32 s12, s12, 17
	v_mad_co_u64_u32 v[1:2], null, s1, v41, v[1:2]
	s_lshl_b64 s[0:1], s[4:5], 3
	s_wait_alu 0xfffe
	v_add_nc_u32_e32 v20, s12, v20
	s_add_nc_u64 s[0:1], s[14:15], s[0:1]
	s_wait_alu 0xfffe
	s_add_nc_u64 s[0:1], s[0:1], s[2:3]
	s_lshl_b64 s[2:3], s[6:7], 3
	v_mov_b32_e32 v38, v1
	v_add3_u32 v1, 0, v3, v8
	s_wait_alu 0xfffe
	s_add_nc_u64 s[0:1], s[0:1], s[2:3]
	v_add3_u32 v3, 0, v8, v3
	v_lshlrev_b64_e32 v[12:13], 3, v[20:21]
	v_add_nc_u32_e32 v20, s12, v20
	ds_load_b64 v[4:5], v1
	v_lshlrev_b64_e32 v[1:2], 3, v[37:38]
	ds_load_2addr_b64 v[8:11], v3 offset0:51 offset1:68
	v_lshlrev_b64_e32 v[14:15], 3, v[20:21]
	v_add_nc_u32_e32 v20, s12, v20
	s_wait_alu 0xfffe
	v_add_co_u32 v1, vcc_lo, s0, v1
	s_wait_alu 0xfffd
	v_add_co_ci_u32_e32 v2, vcc_lo, s1, v2, vcc_lo
	v_lshlrev_b64_e32 v[16:17], 3, v[20:21]
	s_delay_alu instid0(VALU_DEP_3) | instskip(SKIP_1) | instid1(VALU_DEP_3)
	v_add_co_u32 v6, vcc_lo, v1, v6
	s_wait_alu 0xfffd
	v_add_co_ci_u32_e32 v7, vcc_lo, v2, v7, vcc_lo
	v_add_co_u32 v12, vcc_lo, v1, v12
	s_wait_alu 0xfffd
	v_add_co_ci_u32_e32 v13, vcc_lo, v2, v13, vcc_lo
	s_wait_dscnt 0x1
	global_store_b64 v[6:7], v[4:5], off
	ds_load_2addr_b64 v[4:7], v3 offset0:17 offset1:34
	v_add_co_u32 v14, vcc_lo, v1, v14
	s_wait_alu 0xfffd
	v_add_co_ci_u32_e32 v15, vcc_lo, v2, v15, vcc_lo
	v_add_nc_u32_e32 v20, s12, v20
	v_add_co_u32 v16, vcc_lo, v1, v16
	s_wait_alu 0xfffd
	v_add_co_ci_u32_e32 v17, vcc_lo, v2, v17, vcc_lo
	s_delay_alu instid0(VALU_DEP_3)
	v_lshlrev_b64_e32 v[18:19], 3, v[20:21]
	v_add_nc_u32_e32 v20, s12, v20
	s_wait_dscnt 0x0
	s_clause 0x2
	global_store_b64 v[12:13], v[4:5], off
	global_store_b64 v[14:15], v[6:7], off
	;; [unrolled: 1-line block ×3, first 2 shown]
	ds_load_2addr_b64 v[4:7], v3 offset0:85 offset1:102
	v_lshlrev_b64_e32 v[8:9], 3, v[20:21]
	v_add_nc_u32_e32 v20, s12, v20
	v_add_co_u32 v12, vcc_lo, v1, v18
	s_wait_alu 0xfffd
	v_add_co_ci_u32_e32 v13, vcc_lo, v2, v19, vcc_lo
	s_delay_alu instid0(VALU_DEP_3) | instskip(SKIP_4) | instid1(VALU_DEP_4)
	v_lshlrev_b64_e32 v[14:15], 3, v[20:21]
	v_add_nc_u32_e32 v20, s12, v20
	v_add_co_u32 v8, vcc_lo, v1, v8
	s_wait_alu 0xfffd
	v_add_co_ci_u32_e32 v9, vcc_lo, v2, v9, vcc_lo
	v_add_co_u32 v14, vcc_lo, v1, v14
	v_lshlrev_b64_e32 v[16:17], 3, v[20:21]
	v_add_nc_u32_e32 v20, s12, v20
	s_wait_alu 0xfffd
	v_add_co_ci_u32_e32 v15, vcc_lo, v2, v15, vcc_lo
	global_store_b64 v[12:13], v[10:11], off
	s_wait_dscnt 0x0
	s_clause 0x1
	global_store_b64 v[8:9], v[4:5], off
	global_store_b64 v[14:15], v[6:7], off
	ds_load_2addr_b64 v[4:7], v3 offset0:119 offset1:136
	v_lshlrev_b64_e32 v[12:13], 3, v[20:21]
	v_add_nc_u32_e32 v20, s12, v20
	ds_load_2addr_b64 v[8:11], v3 offset0:153 offset1:170
	v_add_co_u32 v16, vcc_lo, v1, v16
	s_wait_alu 0xfffd
	v_add_co_ci_u32_e32 v17, vcc_lo, v2, v17, vcc_lo
	v_lshlrev_b64_e32 v[14:15], 3, v[20:21]
	v_add_nc_u32_e32 v20, s12, v20
	v_add_co_u32 v18, vcc_lo, v1, v12
	s_wait_alu 0xfffd
	v_add_co_ci_u32_e32 v19, vcc_lo, v2, v13, vcc_lo
	s_delay_alu instid0(VALU_DEP_3)
	v_lshlrev_b64_e32 v[22:23], 3, v[20:21]
	v_add_nc_u32_e32 v20, s12, v20
	v_add_co_u32 v24, vcc_lo, v1, v14
	s_wait_alu 0xfffd
	v_add_co_ci_u32_e32 v25, vcc_lo, v2, v15, vcc_lo
	ds_load_2addr_b64 v[12:15], v3 offset0:187 offset1:204
	v_lshlrev_b64_e32 v[26:27], 3, v[20:21]
	v_add_nc_u32_e32 v20, s12, v20
	v_add_co_u32 v22, vcc_lo, v1, v22
	s_wait_alu 0xfffd
	v_add_co_ci_u32_e32 v23, vcc_lo, v2, v23, vcc_lo
	s_wait_dscnt 0x2
	s_clause 0x1
	global_store_b64 v[16:17], v[4:5], off
	global_store_b64 v[18:19], v[6:7], off
	s_wait_dscnt 0x1
	s_clause 0x1
	global_store_b64 v[24:25], v[8:9], off
	global_store_b64 v[22:23], v[10:11], off
	v_lshlrev_b64_e32 v[4:5], 3, v[20:21]
	v_add_co_u32 v6, vcc_lo, v1, v26
	v_add_nc_u32_e32 v20, s12, v20
	s_wait_alu 0xfffd
	v_add_co_ci_u32_e32 v7, vcc_lo, v2, v27, vcc_lo
	s_delay_alu instid0(VALU_DEP_4)
	v_add_co_u32 v4, vcc_lo, v1, v4
	s_wait_alu 0xfffd
	v_add_co_ci_u32_e32 v5, vcc_lo, v2, v5, vcc_lo
	v_lshlrev_b64_e32 v[16:17], 3, v[20:21]
	v_add_nc_u32_e32 v20, s12, v20
	v_add_nc_u32_e32 v8, 0x400, v3
	s_wait_dscnt 0x0
	s_clause 0x1
	global_store_b64 v[6:7], v[12:13], off
	global_store_b64 v[4:5], v[14:15], off
	ds_load_2addr_b64 v[4:7], v3 offset0:221 offset1:238
	v_lshlrev_b64_e32 v[12:13], 3, v[20:21]
	v_add_nc_u32_e32 v20, s12, v20
	ds_load_2addr_b64 v[8:11], v8 offset0:127 offset1:144
	v_add_co_u32 v14, vcc_lo, v1, v16
	s_wait_alu 0xfffd
	v_add_co_ci_u32_e32 v15, vcc_lo, v2, v17, vcc_lo
	v_lshlrev_b64_e32 v[16:17], 3, v[20:21]
	v_add_nc_u32_e32 v20, s12, v20
	v_add_co_u32 v12, vcc_lo, v1, v12
	s_wait_alu 0xfffd
	v_add_co_ci_u32_e32 v13, vcc_lo, v2, v13, vcc_lo
	s_delay_alu instid0(VALU_DEP_3) | instskip(SKIP_4) | instid1(VALU_DEP_3)
	v_lshlrev_b64_e32 v[18:19], 3, v[20:21]
	v_add_co_u32 v16, vcc_lo, v1, v16
	s_wait_alu 0xfffd
	v_add_co_ci_u32_e32 v17, vcc_lo, v2, v17, vcc_lo
	s_mov_b32 s0, exec_lo
	v_add_co_u32 v18, vcc_lo, v1, v18
	s_wait_alu 0xfffd
	v_add_co_ci_u32_e32 v19, vcc_lo, v2, v19, vcc_lo
	s_wait_dscnt 0x1
	s_clause 0x1
	global_store_b64 v[14:15], v[4:5], off
	global_store_b64 v[12:13], v[6:7], off
	s_wait_dscnt 0x0
	s_clause 0x1
	global_store_b64 v[16:17], v[8:9], off
	global_store_b64 v[18:19], v[10:11], off
	v_cmpx_gt_u32_e32 7, v0
	s_cbranch_execz .LBB0_2
; %bb.1:
	ds_load_b64 v[3:4], v3 offset:2312
	v_add_nc_u32_e32 v20, s12, v20
	s_delay_alu instid0(VALU_DEP_1) | instskip(NEXT) | instid1(VALU_DEP_1)
	v_lshlrev_b64_e32 v[5:6], 3, v[20:21]
	v_add_co_u32 v0, vcc_lo, v1, v5
	s_wait_alu 0xfffd
	s_delay_alu instid0(VALU_DEP_2)
	v_add_co_ci_u32_e32 v1, vcc_lo, v2, v6, vcc_lo
	s_wait_dscnt 0x0
	global_store_b64 v[0:1], v[3:4], off
.LBB0_2:
	s_nop 0
	s_sendmsg sendmsg(MSG_DEALLOC_VGPRS)
	s_endpgm
	.section	.rodata,"a",@progbits
	.p2align	6, 0x0
	.amdhsa_kernel fft_rtc_back_len289_factors_17_17_wgs_119_tpt_17_sp_op_CI_CI_sbrc_erc_z_xy_aligned_dirReg
		.amdhsa_group_segment_fixed_size 0
		.amdhsa_private_segment_fixed_size 0
		.amdhsa_kernarg_size 104
		.amdhsa_user_sgpr_count 2
		.amdhsa_user_sgpr_dispatch_ptr 0
		.amdhsa_user_sgpr_queue_ptr 0
		.amdhsa_user_sgpr_kernarg_segment_ptr 1
		.amdhsa_user_sgpr_dispatch_id 0
		.amdhsa_user_sgpr_private_segment_size 0
		.amdhsa_wavefront_size32 1
		.amdhsa_uses_dynamic_stack 0
		.amdhsa_enable_private_segment 0
		.amdhsa_system_sgpr_workgroup_id_x 1
		.amdhsa_system_sgpr_workgroup_id_y 0
		.amdhsa_system_sgpr_workgroup_id_z 0
		.amdhsa_system_sgpr_workgroup_info 0
		.amdhsa_system_vgpr_workitem_id 0
		.amdhsa_next_free_vgpr 76
		.amdhsa_next_free_sgpr 26
		.amdhsa_reserve_vcc 1
		.amdhsa_float_round_mode_32 0
		.amdhsa_float_round_mode_16_64 0
		.amdhsa_float_denorm_mode_32 3
		.amdhsa_float_denorm_mode_16_64 3
		.amdhsa_fp16_overflow 0
		.amdhsa_workgroup_processor_mode 1
		.amdhsa_memory_ordered 1
		.amdhsa_forward_progress 0
		.amdhsa_round_robin_scheduling 0
		.amdhsa_exception_fp_ieee_invalid_op 0
		.amdhsa_exception_fp_denorm_src 0
		.amdhsa_exception_fp_ieee_div_zero 0
		.amdhsa_exception_fp_ieee_overflow 0
		.amdhsa_exception_fp_ieee_underflow 0
		.amdhsa_exception_fp_ieee_inexact 0
		.amdhsa_exception_int_div_zero 0
	.end_amdhsa_kernel
	.text
.Lfunc_end0:
	.size	fft_rtc_back_len289_factors_17_17_wgs_119_tpt_17_sp_op_CI_CI_sbrc_erc_z_xy_aligned_dirReg, .Lfunc_end0-fft_rtc_back_len289_factors_17_17_wgs_119_tpt_17_sp_op_CI_CI_sbrc_erc_z_xy_aligned_dirReg
                                        ; -- End function
	.section	.AMDGPU.csdata,"",@progbits
; Kernel info:
; codeLenInByte = 15620
; NumSgprs: 28
; NumVgprs: 76
; ScratchSize: 0
; MemoryBound: 0
; FloatMode: 240
; IeeeMode: 1
; LDSByteSize: 0 bytes/workgroup (compile time only)
; SGPRBlocks: 3
; VGPRBlocks: 9
; NumSGPRsForWavesPerEU: 28
; NumVGPRsForWavesPerEU: 76
; Occupancy: 16
; WaveLimiterHint : 1
; COMPUTE_PGM_RSRC2:SCRATCH_EN: 0
; COMPUTE_PGM_RSRC2:USER_SGPR: 2
; COMPUTE_PGM_RSRC2:TRAP_HANDLER: 0
; COMPUTE_PGM_RSRC2:TGID_X_EN: 1
; COMPUTE_PGM_RSRC2:TGID_Y_EN: 0
; COMPUTE_PGM_RSRC2:TGID_Z_EN: 0
; COMPUTE_PGM_RSRC2:TIDIG_COMP_CNT: 0
	.text
	.p2alignl 7, 3214868480
	.fill 96, 4, 3214868480
	.type	__hip_cuid_34cf2de4bfa554fb,@object ; @__hip_cuid_34cf2de4bfa554fb
	.section	.bss,"aw",@nobits
	.globl	__hip_cuid_34cf2de4bfa554fb
__hip_cuid_34cf2de4bfa554fb:
	.byte	0                               ; 0x0
	.size	__hip_cuid_34cf2de4bfa554fb, 1

	.ident	"AMD clang version 19.0.0git (https://github.com/RadeonOpenCompute/llvm-project roc-6.4.0 25133 c7fe45cf4b819c5991fe208aaa96edf142730f1d)"
	.section	".note.GNU-stack","",@progbits
	.addrsig
	.addrsig_sym __hip_cuid_34cf2de4bfa554fb
	.amdgpu_metadata
---
amdhsa.kernels:
  - .args:
      - .actual_access:  read_only
        .address_space:  global
        .offset:         0
        .size:           8
        .value_kind:     global_buffer
      - .offset:         8
        .size:           8
        .value_kind:     by_value
      - .actual_access:  read_only
        .address_space:  global
        .offset:         16
        .size:           8
        .value_kind:     global_buffer
      - .actual_access:  read_only
        .address_space:  global
        .offset:         24
        .size:           8
        .value_kind:     global_buffer
      - .actual_access:  read_only
        .address_space:  global
        .offset:         32
        .size:           8
        .value_kind:     global_buffer
      - .offset:         40
        .size:           8
        .value_kind:     by_value
      - .actual_access:  read_only
        .address_space:  global
        .offset:         48
        .size:           8
        .value_kind:     global_buffer
      - .actual_access:  read_only
        .address_space:  global
        .offset:         56
        .size:           8
        .value_kind:     global_buffer
      - .offset:         64
        .size:           4
        .value_kind:     by_value
      - .actual_access:  read_only
        .address_space:  global
        .offset:         72
        .size:           8
        .value_kind:     global_buffer
      - .actual_access:  read_only
        .address_space:  global
        .offset:         80
        .size:           8
        .value_kind:     global_buffer
      - .actual_access:  read_only
        .address_space:  global
        .offset:         88
        .size:           8
        .value_kind:     global_buffer
      - .actual_access:  write_only
        .address_space:  global
        .offset:         96
        .size:           8
        .value_kind:     global_buffer
    .group_segment_fixed_size: 0
    .kernarg_segment_align: 8
    .kernarg_segment_size: 104
    .language:       OpenCL C
    .language_version:
      - 2
      - 0
    .max_flat_workgroup_size: 119
    .name:           fft_rtc_back_len289_factors_17_17_wgs_119_tpt_17_sp_op_CI_CI_sbrc_erc_z_xy_aligned_dirReg
    .private_segment_fixed_size: 0
    .sgpr_count:     28
    .sgpr_spill_count: 0
    .symbol:         fft_rtc_back_len289_factors_17_17_wgs_119_tpt_17_sp_op_CI_CI_sbrc_erc_z_xy_aligned_dirReg.kd
    .uniform_work_group_size: 1
    .uses_dynamic_stack: false
    .vgpr_count:     76
    .vgpr_spill_count: 0
    .wavefront_size: 32
    .workgroup_processor_mode: 1
amdhsa.target:   amdgcn-amd-amdhsa--gfx1201
amdhsa.version:
  - 1
  - 2
...

	.end_amdgpu_metadata
